;; amdgpu-corpus repo=ROCm/rocFFT kind=compiled arch=gfx1100 opt=O3
	.text
	.amdgcn_target "amdgcn-amd-amdhsa--gfx1100"
	.amdhsa_code_object_version 6
	.protected	bluestein_single_back_len2025_dim1_dp_op_CI_CI ; -- Begin function bluestein_single_back_len2025_dim1_dp_op_CI_CI
	.globl	bluestein_single_back_len2025_dim1_dp_op_CI_CI
	.p2align	8
	.type	bluestein_single_back_len2025_dim1_dp_op_CI_CI,@function
bluestein_single_back_len2025_dim1_dp_op_CI_CI: ; @bluestein_single_back_len2025_dim1_dp_op_CI_CI
; %bb.0:
	s_load_b128 s[16:19], s[0:1], 0x28
	v_mul_u32_u24_e32 v1, 0x1e6, v0
	s_mov_b32 s2, exec_lo
	v_mov_b32_e32 v3, 0
	s_delay_alu instid0(VALU_DEP_2) | instskip(NEXT) | instid1(VALU_DEP_1)
	v_lshrrev_b32_e32 v1, 16, v1
	v_add_nc_u32_e32 v2, s15, v1
	s_waitcnt lgkmcnt(0)
	s_delay_alu instid0(VALU_DEP_1)
	v_cmpx_gt_u64_e64 s[16:17], v[2:3]
	s_cbranch_execz .LBB0_2
; %bb.1:
	s_clause 0x1
	s_load_b128 s[4:7], s[0:1], 0x18
	s_load_b128 s[8:11], s[0:1], 0x0
	v_mul_lo_u16 v1, 0x87, v1
	s_mov_b32 s16, 0x134454ff
	s_mov_b32 s17, 0x3fee6f0e
	;; [unrolled: 1-line block ×4, first 2 shown]
	v_sub_nc_u16 v26, v0, v1
	s_load_b64 s[0:1], s[0:1], 0x38
	s_delay_alu instid0(VALU_DEP_1)
	v_dual_mov_b32 v7, v2 :: v_dual_and_b32 v6, 0xffff, v26
	scratch_store_b64 off, v[7:8], off      ; 8-byte Folded Spill
	s_waitcnt lgkmcnt(0)
	s_load_b128 s[12:15], s[4:5], 0x0
	s_waitcnt lgkmcnt(0)
	v_mad_u64_u32 v[0:1], null, s14, v2, 0
	v_mad_u64_u32 v[2:3], null, s12, v6, 0
	s_mul_hi_u32 s4, s12, 0x2a30
	s_mul_i32 s3, s12, 0x2a30
	s_mul_i32 s5, s13, 0xffffb410
	s_delay_alu instid0(VALU_DEP_1) | instskip(SKIP_2) | instid1(VALU_DEP_1)
	v_mad_u64_u32 v[4:5], null, s15, v7, v[1:2]
	v_mov_b32_e32 v1, v6
	s_mov_b32 s15, 0xbfe2cf23
	v_lshlrev_b32_e32 v131, 4, v1
	global_load_b128 v[16:19], v131, s[8:9]
	s_waitcnt vmcnt(0)
	v_mov_b32_e32 v34, v19
	v_mov_b32_e32 v32, v17
	v_mad_u64_u32 v[5:6], null, s13, v1, v[3:4]
	v_mov_b32_e32 v59, v1
	v_mov_b32_e32 v1, v4
	v_add_co_u32 v130, s2, s8, v131
	s_delay_alu instid0(VALU_DEP_1) | instskip(NEXT) | instid1(VALU_DEP_3)
	v_add_co_ci_u32_e64 v129, null, s9, 0, s2
	v_lshlrev_b64 v[0:1], 4, v[0:1]
	v_mov_b32_e32 v3, v5
	s_mul_i32 s2, s13, 0x2a30
	v_mov_b32_e32 v33, v18
	s_add_i32 s2, s4, s2
	v_mov_b32_e32 v31, v16
	v_lshlrev_b64 v[2:3], 4, v[2:3]
	v_add_co_u32 v0, vcc_lo, s18, v0
	v_add_co_ci_u32_e32 v1, vcc_lo, s19, v1, vcc_lo
	v_add_co_u32 v8, vcc_lo, 0x2000, v130
	v_add_co_ci_u32_e32 v9, vcc_lo, 0, v129, vcc_lo
	s_delay_alu instid0(VALU_DEP_4) | instskip(NEXT) | instid1(VALU_DEP_4)
	v_add_co_u32 v4, vcc_lo, v0, v2
	v_add_co_ci_u32_e32 v5, vcc_lo, v1, v3, vcc_lo
	s_mul_hi_u32 s4, s12, 0xffffb410
	s_delay_alu instid0(VALU_DEP_2)
	v_add_co_u32 v10, vcc_lo, v4, s3
	global_load_b128 v[0:3], v[4:5], off
	v_add_co_ci_u32_e32 v11, vcc_lo, s2, v5, vcc_lo
	global_load_b128 v[20:23], v[8:9], off offset:2608
	global_load_b128 v[4:7], v[10:11], off
	s_clause 0x1
	global_load_b128 v[27:30], v131, s[8:9] offset:2160
	global_load_b128 v[43:46], v[8:9], off offset:448
	s_sub_i32 s4, s4, s12
	s_mul_i32 s8, s12, 0xffffb410
	s_add_i32 s4, s4, s5
	s_mov_b32 s9, 0xbfebb67a
	s_mov_b32 s19, 0xbfee6f0e
	;; [unrolled: 1-line block ×3, first 2 shown]
	scratch_store_b128 off, v[31:34], off offset:184 ; 16-byte Folded Spill
	s_waitcnt vmcnt(4)
	v_mul_f64 v[12:13], v[2:3], v[18:19]
	v_mul_f64 v[14:15], v[0:1], v[18:19]
	v_add_co_u32 v18, vcc_lo, v10, s3
	s_waitcnt vmcnt(2)
	v_mul_f64 v[8:9], v[6:7], v[22:23]
	v_mul_f64 v[16:17], v[4:5], v[22:23]
	v_add_co_ci_u32_e32 v19, vcc_lo, s2, v11, vcc_lo
	scratch_store_b128 off, v[20:23], off offset:8 ; 16-byte Folded Spill
	v_fma_f64 v[0:1], v[0:1], v[31:32], v[12:13]
	v_add_co_u32 v12, vcc_lo, 0x5000, v130
	v_add_co_ci_u32_e32 v13, vcc_lo, 0, v129, vcc_lo
	v_fma_f64 v[4:5], v[4:5], v[20:21], v[8:9]
	v_fma_f64 v[6:7], v[6:7], v[20:21], -v[16:17]
	global_load_b128 v[8:11], v[18:19], off
	global_load_b128 v[20:23], v[12:13], off offset:1120
	v_fma_f64 v[2:3], v[2:3], v[31:32], -v[14:15]
	global_load_b128 v[31:34], v[12:13], off offset:3280
	s_waitcnt vmcnt(1)
	v_mul_f64 v[12:13], v[10:11], v[22:23]
	v_mul_f64 v[14:15], v[8:9], v[22:23]
	scratch_store_b128 off, v[20:23], off offset:24 ; 16-byte Folded Spill
	v_fma_f64 v[8:9], v[8:9], v[20:21], v[12:13]
	v_add_co_u32 v12, vcc_lo, v18, s8
	v_add_co_ci_u32_e32 v13, vcc_lo, s4, v19, vcc_lo
	v_fma_f64 v[10:11], v[10:11], v[20:21], -v[14:15]
	s_delay_alu instid0(VALU_DEP_3) | instskip(NEXT) | instid1(VALU_DEP_3)
	v_add_co_u32 v20, vcc_lo, v12, s3
	v_add_co_ci_u32_e32 v21, vcc_lo, s2, v13, vcc_lo
	s_clause 0x1
	global_load_b128 v[12:15], v[12:13], off
	global_load_b128 v[16:19], v[20:21], off
	scratch_store_b128 off, v[27:30], off offset:40 ; 16-byte Folded Spill
	s_waitcnt vmcnt(2)
	scratch_store_b128 off, v[31:34], off offset:72 ; 16-byte Folded Spill
	s_waitcnt vmcnt(1)
	v_mul_f64 v[22:23], v[14:15], v[29:30]
	v_mul_f64 v[24:25], v[12:13], v[29:30]
	s_delay_alu instid0(VALU_DEP_2) | instskip(SKIP_2) | instid1(VALU_DEP_4)
	v_fma_f64 v[12:13], v[12:13], v[27:28], v[22:23]
	v_add_co_u32 v22, vcc_lo, 0x3000, v130
	v_add_co_ci_u32_e32 v23, vcc_lo, 0, v129, vcc_lo
	v_fma_f64 v[14:15], v[14:15], v[27:28], -v[24:25]
	v_add_co_u32 v20, vcc_lo, v20, s3
	s_clause 0x1
	global_load_b128 v[27:30], v[22:23], off offset:672
	global_load_b128 v[39:42], v[22:23], off offset:2832
	v_add_co_ci_u32_e32 v21, vcc_lo, s2, v21, vcc_lo
	s_waitcnt vmcnt(1)
	v_mul_f64 v[22:23], v[18:19], v[29:30]
	v_mul_f64 v[24:25], v[16:17], v[29:30]
	scratch_store_b128 off, v[27:30], off offset:56 ; 16-byte Folded Spill
	v_fma_f64 v[16:17], v[16:17], v[27:28], v[22:23]
	v_fma_f64 v[18:19], v[18:19], v[27:28], -v[24:25]
	global_load_b128 v[27:30], v[20:21], off
	v_add_co_u32 v20, vcc_lo, v20, s8
	v_add_co_ci_u32_e32 v21, vcc_lo, s4, v21, vcc_lo
	s_waitcnt vmcnt(0)
	v_mul_f64 v[22:23], v[29:30], v[33:34]
	v_mul_f64 v[24:25], v[27:28], v[33:34]
	s_delay_alu instid0(VALU_DEP_2) | instskip(SKIP_2) | instid1(VALU_DEP_4)
	v_fma_f64 v[27:28], v[27:28], v[31:32], v[22:23]
	v_add_co_u32 v22, vcc_lo, 0x1000, v130
	v_add_co_ci_u32_e32 v23, vcc_lo, 0, v129, vcc_lo
	v_fma_f64 v[29:30], v[29:30], v[31:32], -v[24:25]
	global_load_b128 v[35:38], v[22:23], off offset:224
	s_waitcnt vmcnt(0)
	scratch_store_b128 off, v[35:38], off offset:88 ; 16-byte Folded Spill
	global_load_b128 v[47:50], v[22:23], off offset:2384
	global_load_b128 v[31:34], v[20:21], off
	v_add_co_u32 v20, vcc_lo, v20, s3
	v_add_co_ci_u32_e32 v21, vcc_lo, s2, v21, vcc_lo
	s_waitcnt vmcnt(0)
	v_mul_f64 v[22:23], v[33:34], v[37:38]
	v_mul_f64 v[24:25], v[31:32], v[37:38]
	s_delay_alu instid0(VALU_DEP_2) | instskip(NEXT) | instid1(VALU_DEP_2)
	v_fma_f64 v[31:32], v[31:32], v[35:36], v[22:23]
	v_fma_f64 v[33:34], v[33:34], v[35:36], -v[24:25]
	global_load_b128 v[35:38], v[20:21], off
	v_add_co_u32 v20, vcc_lo, v20, s3
	v_add_co_ci_u32_e32 v21, vcc_lo, s2, v21, vcc_lo
	s_waitcnt vmcnt(0)
	v_mul_f64 v[22:23], v[37:38], v[41:42]
	v_mul_f64 v[24:25], v[35:36], v[41:42]
	s_delay_alu instid0(VALU_DEP_2) | instskip(SKIP_2) | instid1(VALU_DEP_4)
	v_fma_f64 v[35:36], v[35:36], v[39:40], v[22:23]
	v_add_co_u32 v22, vcc_lo, 0x6000, v130
	v_add_co_ci_u32_e32 v23, vcc_lo, 0, v129, vcc_lo
	v_fma_f64 v[37:38], v[37:38], v[39:40], -v[24:25]
	global_load_b128 v[55:58], v[22:23], off offset:1344
	scratch_store_b128 off, v[39:42], off offset:104 ; 16-byte Folded Spill
	s_waitcnt vmcnt(0)
	scratch_store_b128 off, v[55:58], off offset:120 ; 16-byte Folded Spill
	global_load_b128 v[51:54], v[22:23], off offset:3504
	global_load_b128 v[39:42], v[20:21], off
	v_add_co_u32 v20, vcc_lo, v20, s8
	v_add_co_ci_u32_e32 v21, vcc_lo, s4, v21, vcc_lo
	scratch_store_b128 off, v[47:50], off offset:136 ; 16-byte Folded Spill
	s_waitcnt vmcnt(0)
	v_mul_f64 v[22:23], v[41:42], v[57:58]
	v_mul_f64 v[24:25], v[39:40], v[57:58]
	s_delay_alu instid0(VALU_DEP_2) | instskip(NEXT) | instid1(VALU_DEP_2)
	v_fma_f64 v[60:61], v[39:40], v[55:56], v[22:23]
	v_fma_f64 v[62:63], v[41:42], v[55:56], -v[24:25]
	global_load_b128 v[39:42], v[20:21], off
	v_add_co_u32 v20, vcc_lo, v20, s3
	v_add_co_ci_u32_e32 v21, vcc_lo, s2, v21, vcc_lo
	s_waitcnt vmcnt(0)
	v_mul_f64 v[22:23], v[41:42], v[49:50]
	v_mul_f64 v[24:25], v[39:40], v[49:50]
	s_delay_alu instid0(VALU_DEP_2) | instskip(SKIP_2) | instid1(VALU_DEP_4)
	v_fma_f64 v[64:65], v[39:40], v[47:48], v[22:23]
	v_add_co_u32 v22, vcc_lo, 0x4000, v130
	v_add_co_ci_u32_e32 v23, vcc_lo, 0, v129, vcc_lo
	v_fma_f64 v[66:67], v[41:42], v[47:48], -v[24:25]
	s_clause 0x1
	global_load_b128 v[55:58], v[22:23], off offset:896
	global_load_b128 v[47:50], v[22:23], off offset:3056
	global_load_b128 v[39:42], v[20:21], off
	v_add_co_u32 v20, vcc_lo, v20, s3
	v_add_co_ci_u32_e32 v21, vcc_lo, s2, v21, vcc_lo
	s_clause 0x1
	scratch_store_b128 off, v[43:46], off offset:200
	scratch_store_b128 off, v[51:54], off offset:168
	s_waitcnt vmcnt(2)
	scratch_store_b128 off, v[55:58], off offset:152 ; 16-byte Folded Spill
	s_waitcnt vmcnt(1)
	scratch_store_b128 off, v[47:50], off offset:216 ; 16-byte Folded Spill
	s_waitcnt vmcnt(0)
	v_mul_f64 v[22:23], v[41:42], v[57:58]
	v_mul_f64 v[24:25], v[39:40], v[57:58]
	s_delay_alu instid0(VALU_DEP_2) | instskip(NEXT) | instid1(VALU_DEP_2)
	v_fma_f64 v[68:69], v[39:40], v[55:56], v[22:23]
	v_fma_f64 v[70:71], v[41:42], v[55:56], -v[24:25]
	global_load_b128 v[39:42], v[20:21], off
	v_add_co_u32 v20, vcc_lo, v20, s8
	v_add_co_ci_u32_e32 v21, vcc_lo, s4, v21, vcc_lo
	s_waitcnt vmcnt(0)
	v_mul_f64 v[22:23], v[41:42], v[53:54]
	v_mul_f64 v[24:25], v[39:40], v[53:54]
	s_delay_alu instid0(VALU_DEP_2) | instskip(NEXT) | instid1(VALU_DEP_2)
	v_fma_f64 v[72:73], v[39:40], v[51:52], v[22:23]
	v_fma_f64 v[74:75], v[41:42], v[51:52], -v[24:25]
	global_load_b128 v[39:42], v[20:21], off
	v_add_co_u32 v20, vcc_lo, v20, s3
	v_add_co_ci_u32_e32 v21, vcc_lo, s2, v21, vcc_lo
	;; [unrolled: 9-line block ×3, first 2 shown]
	s_mov_b32 s2, 0xe8584caa
	s_mov_b32 s3, 0x3febb67a
	;; [unrolled: 1-line block ×3, first 2 shown]
	s_waitcnt vmcnt(0)
	v_mul_f64 v[22:23], v[41:42], v[49:50]
	v_mul_f64 v[24:25], v[39:40], v[49:50]
	s_delay_alu instid0(VALU_DEP_2) | instskip(SKIP_2) | instid1(VALU_DEP_4)
	v_fma_f64 v[80:81], v[39:40], v[47:48], v[22:23]
	v_add_co_u32 v22, vcc_lo, 0x7000, v130
	v_add_co_ci_u32_e32 v23, vcc_lo, 0, v129, vcc_lo
	v_fma_f64 v[82:83], v[41:42], v[47:48], -v[24:25]
	v_cmp_gt_u16_e32 vcc_lo, 0x5a, v26
	scratch_store_b64 off, v[22:23], off offset:248 ; 8-byte Folded Spill
	global_load_b128 v[84:87], v[20:21], off
	global_load_b128 v[39:42], v[22:23], off offset:1568
	s_waitcnt vmcnt(0)
	v_mul_f64 v[20:21], v[86:87], v[41:42]
	v_mul_f64 v[22:23], v[84:85], v[41:42]
	scratch_store_b128 off, v[39:42], off offset:232 ; 16-byte Folded Spill
	v_fma_f64 v[84:85], v[84:85], v[39:40], v[20:21]
	v_fma_f64 v[86:87], v[86:87], v[39:40], -v[22:23]
	ds_store_b128 v131, v[0:3]
	ds_store_b128 v131, v[12:15] offset:2160
	ds_store_b128 v131, v[8:11] offset:21600
	;; [unrolled: 1-line block ×14, first 2 shown]
	s_load_b128 s[4:7], s[6:7], 0x0
	s_waitcnt lgkmcnt(0)
	s_waitcnt_vscnt null, 0x0
	s_barrier
	buffer_gl0_inv
	ds_load_b128 v[0:3], v131 offset:10800
	ds_load_b128 v[16:19], v131
	ds_load_b128 v[27:30], v131 offset:2160
	ds_load_b128 v[31:34], v131 offset:8640
	;; [unrolled: 1-line block ×4, first 2 shown]
	s_waitcnt lgkmcnt(4)
	v_add_f64 v[12:13], v[16:17], v[0:1]
	v_add_f64 v[14:15], v[18:19], v[2:3]
	s_waitcnt lgkmcnt(1)
	v_add_f64 v[20:21], v[0:1], v[4:5]
	v_add_f64 v[22:23], v[2:3], v[6:7]
	v_add_f64 v[24:25], v[2:3], -v[6:7]
	v_add_f64 v[39:40], v[0:1], -v[4:5]
	v_add_f64 v[35:36], v[12:13], v[4:5]
	v_add_f64 v[37:38], v[14:15], v[6:7]
	ds_load_b128 v[0:3], v131 offset:12960
	ds_load_b128 v[4:7], v131 offset:15120
	;; [unrolled: 1-line block ×4, first 2 shown]
	v_fma_f64 v[16:17], v[20:21], -0.5, v[16:17]
	v_fma_f64 v[18:19], v[22:23], -0.5, v[18:19]
	s_waitcnt lgkmcnt(3)
	v_add_f64 v[12:13], v[27:28], v[0:1]
	v_add_f64 v[14:15], v[29:30], v[2:3]
	s_waitcnt lgkmcnt(1)
	v_add_f64 v[49:50], v[60:61], v[4:5]
	v_add_f64 v[51:52], v[62:63], v[6:7]
	;; [unrolled: 1-line block ×4, first 2 shown]
	v_add_f64 v[45:46], v[2:3], -v[10:11]
	v_add_f64 v[47:48], v[0:1], -v[8:9]
	v_add_f64 v[0:1], v[12:13], v[8:9]
	v_add_f64 v[2:3], v[14:15], v[10:11]
	ds_load_b128 v[8:11], v131 offset:25920
	ds_load_b128 v[12:15], v131 offset:28080
	v_fma_f64 v[20:21], v[41:42], -0.5, v[27:28]
	v_fma_f64 v[22:23], v[43:44], -0.5, v[29:30]
	v_fma_f64 v[27:28], v[24:25], s[2:3], v[16:17]
	v_fma_f64 v[29:30], v[39:40], s[8:9], v[18:19]
	s_waitcnt lgkmcnt(1)
	v_add_f64 v[53:54], v[4:5], v[8:9]
	v_add_f64 v[55:56], v[6:7], v[10:11]
	v_add_f64 v[57:58], v[6:7], -v[10:11]
	v_add_f64 v[74:75], v[4:5], -v[8:9]
	v_add_f64 v[4:5], v[49:50], v[8:9]
	v_add_f64 v[6:7], v[51:52], v[10:11]
	ds_load_b128 v[8:11], v131 offset:17280
	ds_load_b128 v[68:71], v131 offset:19440
	v_fma_f64 v[84:85], v[45:46], s[2:3], v[20:21]
	v_fma_f64 v[86:87], v[47:48], s[8:9], v[22:23]
	;; [unrolled: 1-line block ×3, first 2 shown]
	s_waitcnt lgkmcnt(1)
	v_add_f64 v[49:50], v[64:65], v[8:9]
	v_add_f64 v[51:52], v[66:67], v[10:11]
	v_add_f64 v[72:73], v[8:9], v[12:13]
	v_add_f64 v[76:77], v[10:11], v[14:15]
	v_add_f64 v[88:89], v[10:11], -v[14:15]
	v_add_f64 v[90:91], v[8:9], -v[12:13]
	v_fma_f64 v[41:42], v[53:54], -0.5, v[60:61]
	v_fma_f64 v[43:44], v[55:56], -0.5, v[62:63]
	v_add_f64 v[8:9], v[49:50], v[12:13]
	v_add_f64 v[10:11], v[51:52], v[14:15]
	ds_load_b128 v[12:15], v131 offset:30240
	s_waitcnt lgkmcnt(1)
	v_add_f64 v[49:50], v[31:32], v[68:69]
	v_add_f64 v[51:52], v[33:34], v[70:71]
	s_waitcnt lgkmcnt(0)
	v_add_f64 v[78:79], v[68:69], v[12:13]
	v_add_f64 v[80:81], v[70:71], v[14:15]
	v_add_f64 v[92:93], v[70:71], -v[14:15]
	v_add_f64 v[94:95], v[68:69], -v[12:13]
	v_add_f64 v[12:13], v[49:50], v[12:13]
	v_add_f64 v[14:15], v[51:52], v[14:15]
	v_fma_f64 v[49:50], v[72:73], -0.5, v[64:65]
	v_fma_f64 v[51:52], v[76:77], -0.5, v[66:67]
	v_fma_f64 v[76:77], v[57:58], s[2:3], v[41:42]
	v_fma_f64 v[72:73], v[57:58], s[8:9], v[41:42]
	v_fma_f64 v[53:54], v[78:79], -0.5, v[31:32]
	v_fma_f64 v[55:56], v[80:81], -0.5, v[33:34]
	v_fma_f64 v[31:32], v[24:25], s[8:9], v[16:17]
	v_fma_f64 v[33:34], v[39:40], s[2:3], v[18:19]
	;; [unrolled: 1-line block ×3, first 2 shown]
	v_mul_lo_u16 v20, v26, 3
	v_fma_f64 v[78:79], v[74:75], s[8:9], v[43:44]
	v_fma_f64 v[74:75], v[74:75], s[2:3], v[43:44]
	v_and_b32_e32 v24, 0xff, v26
	s_delay_alu instid0(VALU_DEP_4) | instskip(SKIP_2) | instid1(VALU_DEP_3)
	v_and_b32_e32 v20, 0xffff, v20
	v_add_co_u32 v43, null, 0x195, v59
	v_add_co_u32 v42, null, 0x21c, v59
	v_lshlrev_b32_e32 v20, 4, v20
	scratch_store_b32 off, v20, off offset:256 ; 4-byte Folded Spill
	s_waitcnt_vscnt null, 0x0
	s_barrier
	buffer_gl0_inv
	ds_store_b128 v20, v[35:38]
	ds_store_b128 v20, v[27:30] offset:16
	ds_store_b128 v20, v[31:34] offset:32
	v_add_co_u32 v30, s12, 0x87, v59
	v_fma_f64 v[68:69], v[88:89], s[2:3], v[49:50]
	v_fma_f64 v[70:71], v[90:91], s[8:9], v[51:52]
	;; [unrolled: 1-line block ×4, first 2 shown]
	v_mul_u32_u24_e32 v20, 3, v30
	v_fma_f64 v[60:61], v[92:93], s[2:3], v[53:54]
	v_fma_f64 v[62:63], v[94:95], s[8:9], v[55:56]
	;; [unrolled: 1-line block ×4, first 2 shown]
	v_lshlrev_b32_e32 v20, 4, v20
	v_and_b32_e32 v27, 0xffff, v30
	v_add_co_ci_u32_e64 v88, null, 0, 0, s12
	scratch_store_b32 off, v20, off offset:536 ; 4-byte Folded Spill
	ds_store_b128 v20, v[0:3]
	ds_store_b128 v20, v[84:87] offset:16
	ds_store_b128 v20, v[80:83] offset:32
	v_add_co_u32 v84, null, 0x10e, v59
	s_delay_alu instid0(VALU_DEP_1) | instskip(SKIP_1) | instid1(VALU_DEP_2)
	v_mul_u32_u24_e32 v0, 3, v84
	v_and_b32_e32 v25, 0xffff, v84
	v_lshlrev_b32_e32 v0, 4, v0
	scratch_store_b32 off, v0, off offset:532 ; 4-byte Folded Spill
	ds_store_b128 v0, v[4:7]
	ds_store_b128 v0, v[76:79] offset:16
	ds_store_b128 v0, v[72:75] offset:32
	v_mul_u32_u24_e32 v0, 3, v43
	s_delay_alu instid0(VALU_DEP_1)
	v_lshlrev_b32_e32 v0, 4, v0
	scratch_store_b32 off, v0, off offset:528 ; 4-byte Folded Spill
	ds_store_b128 v0, v[8:11]
	ds_store_b128 v0, v[68:71] offset:16
	ds_store_b128 v0, v[64:67] offset:32
	v_mul_u32_u24_e32 v0, 3, v42
	s_delay_alu instid0(VALU_DEP_1)
	v_lshlrev_b32_e32 v0, 4, v0
	scratch_store_b32 off, v0, off offset:524 ; 4-byte Folded Spill
	ds_store_b128 v0, v[12:15]
	ds_store_b128 v0, v[60:63] offset:16
	ds_store_b128 v0, v[16:19] offset:32
	v_mul_lo_u16 v0, 0xab, v24
	s_waitcnt lgkmcnt(0)
	s_waitcnt_vscnt null, 0x0
	s_barrier
	buffer_gl0_inv
	v_and_b32_e32 v60, 0xffff, v43
	v_lshrrev_b16 v41, 9, v0
	v_and_b32_e32 v61, 0xffff, v42
	s_delay_alu instid0(VALU_DEP_2) | instskip(NEXT) | instid1(VALU_DEP_1)
	v_mul_lo_u16 v0, v41, 3
	v_sub_nc_u16 v0, v26, v0
	s_delay_alu instid0(VALU_DEP_1) | instskip(NEXT) | instid1(VALU_DEP_1)
	v_and_b32_e32 v82, 0xff, v0
	v_lshlrev_b32_e32 v0, 5, v82
	s_clause 0x1
	global_load_b128 v[240:243], v0, s[10:11]
	global_load_b128 v[236:239], v0, s[10:11] offset:16
	ds_load_b128 v[0:3], v131 offset:10800
	ds_load_b128 v[31:34], v131 offset:8640
	s_waitcnt vmcnt(1) lgkmcnt(1)
	v_mul_f64 v[4:5], v[2:3], v[242:243]
	s_delay_alu instid0(VALU_DEP_1) | instskip(SKIP_1) | instid1(VALU_DEP_1)
	v_fma_f64 v[12:13], v[0:1], v[240:241], -v[4:5]
	v_mul_f64 v[0:1], v[0:1], v[242:243]
	v_fma_f64 v[14:15], v[2:3], v[240:241], v[0:1]
	ds_load_b128 v[0:3], v131 offset:21600
	ds_load_b128 v[4:7], v131 offset:23760
	s_waitcnt vmcnt(0) lgkmcnt(1)
	v_mul_f64 v[8:9], v[2:3], v[238:239]
	s_delay_alu instid0(VALU_DEP_1) | instskip(SKIP_1) | instid1(VALU_DEP_2)
	v_fma_f64 v[16:17], v[0:1], v[236:237], -v[8:9]
	v_mul_f64 v[0:1], v[0:1], v[238:239]
	v_add_f64 v[52:53], v[12:13], v[16:17]
	s_delay_alu instid0(VALU_DEP_2) | instskip(SKIP_1) | instid1(VALU_DEP_1)
	v_fma_f64 v[18:19], v[2:3], v[236:237], v[0:1]
	v_mul_u32_u24_e32 v0, 0xaaab, v27
	v_lshrrev_b32_e32 v83, 17, v0
	s_delay_alu instid0(VALU_DEP_1) | instskip(NEXT) | instid1(VALU_DEP_1)
	v_mul_lo_u16 v0, v83, 3
	v_sub_nc_u16 v85, v30, v0
	s_delay_alu instid0(VALU_DEP_1) | instskip(NEXT) | instid1(VALU_DEP_1)
	v_lshlrev_b16 v0, 1, v85
	v_and_b32_e32 v0, 0xffff, v0
	s_delay_alu instid0(VALU_DEP_1)
	v_lshlrev_b32_e32 v0, 4, v0
	s_clause 0x1
	global_load_b128 v[248:251], v0, s[10:11]
	global_load_b128 v[244:247], v0, s[10:11] offset:16
	ds_load_b128 v[0:3], v131 offset:12960
	ds_load_b128 v[8:11], v131 offset:15120
	v_add_f64 v[54:55], v[14:15], v[18:19]
	s_waitcnt vmcnt(1) lgkmcnt(1)
	v_mul_f64 v[20:21], v[2:3], v[250:251]
	s_delay_alu instid0(VALU_DEP_1) | instskip(SKIP_1) | instid1(VALU_DEP_1)
	v_fma_f64 v[20:21], v[0:1], v[248:249], -v[20:21]
	v_mul_f64 v[0:1], v[0:1], v[250:251]
	v_fma_f64 v[22:23], v[2:3], v[248:249], v[0:1]
	s_waitcnt vmcnt(0)
	v_mul_f64 v[0:1], v[6:7], v[246:247]
	s_delay_alu instid0(VALU_DEP_1) | instskip(SKIP_1) | instid1(VALU_DEP_1)
	v_fma_f64 v[28:29], v[4:5], v[244:245], -v[0:1]
	v_mul_f64 v[0:1], v[4:5], v[246:247]
	v_fma_f64 v[35:36], v[6:7], v[244:245], v[0:1]
	v_mul_u32_u24_e32 v0, 0xaaab, v25
	s_delay_alu instid0(VALU_DEP_1) | instskip(NEXT) | instid1(VALU_DEP_1)
	v_lshrrev_b32_e32 v86, 17, v0
	v_mul_lo_u16 v0, v86, 3
	s_delay_alu instid0(VALU_DEP_1) | instskip(NEXT) | instid1(VALU_DEP_1)
	v_sub_nc_u16 v87, v84, v0
	v_lshlrev_b16 v0, 1, v87
	s_delay_alu instid0(VALU_DEP_1) | instskip(NEXT) | instid1(VALU_DEP_1)
	v_and_b32_e32 v0, 0xffff, v0
	v_lshlrev_b32_e32 v0, 4, v0
	s_clause 0x1
	global_load_b128 v[148:151], v0, s[10:11]
	global_load_b128 v[252:255], v0, s[10:11] offset:16
	s_waitcnt vmcnt(1) lgkmcnt(0)
	v_mul_f64 v[0:1], v[10:11], v[150:151]
	s_delay_alu instid0(VALU_DEP_1) | instskip(SKIP_1) | instid1(VALU_DEP_1)
	v_fma_f64 v[37:38], v[8:9], v[148:149], -v[0:1]
	v_mul_f64 v[0:1], v[8:9], v[150:151]
	v_fma_f64 v[8:9], v[10:11], v[148:149], v[0:1]
	ds_load_b128 v[0:3], v131 offset:25920
	ds_load_b128 v[4:7], v131 offset:28080
	s_waitcnt vmcnt(0) lgkmcnt(1)
	v_mul_f64 v[10:11], v[2:3], v[254:255]
	s_delay_alu instid0(VALU_DEP_1) | instskip(SKIP_1) | instid1(VALU_DEP_1)
	v_fma_f64 v[10:11], v[0:1], v[252:253], -v[10:11]
	v_mul_f64 v[0:1], v[0:1], v[254:255]
	v_fma_f64 v[39:40], v[2:3], v[252:253], v[0:1]
	v_mul_u32_u24_e32 v0, 0xaaab, v60
	s_delay_alu instid0(VALU_DEP_1) | instskip(NEXT) | instid1(VALU_DEP_1)
	v_lshrrev_b32_e32 v152, 17, v0
	v_mul_lo_u16 v0, v152, 3
	s_delay_alu instid0(VALU_DEP_1) | instskip(NEXT) | instid1(VALU_DEP_1)
	v_sub_nc_u16 v153, v43, v0
	v_lshlrev_b16 v0, 1, v153
	s_delay_alu instid0(VALU_DEP_1) | instskip(NEXT) | instid1(VALU_DEP_1)
	v_and_b32_e32 v0, 0xffff, v0
	v_lshlrev_b32_e32 v0, 4, v0
	s_clause 0x1
	global_load_b128 v[140:143], v0, s[10:11]
	global_load_b128 v[144:147], v0, s[10:11] offset:16
	ds_load_b128 v[0:3], v131 offset:17280
	ds_load_b128 v[62:65], v131 offset:19440
	s_waitcnt vmcnt(1) lgkmcnt(1)
	v_mul_f64 v[44:45], v[2:3], v[142:143]
	s_delay_alu instid0(VALU_DEP_1) | instskip(SKIP_1) | instid1(VALU_DEP_1)
	v_fma_f64 v[44:45], v[0:1], v[140:141], -v[44:45]
	v_mul_f64 v[0:1], v[0:1], v[142:143]
	v_fma_f64 v[0:1], v[2:3], v[140:141], v[0:1]
	s_waitcnt vmcnt(0)
	v_mul_f64 v[2:3], v[6:7], v[146:147]
	s_delay_alu instid0(VALU_DEP_1) | instskip(SKIP_1) | instid1(VALU_DEP_1)
	v_fma_f64 v[2:3], v[4:5], v[144:145], -v[2:3]
	v_mul_f64 v[4:5], v[4:5], v[146:147]
	v_fma_f64 v[4:5], v[6:7], v[144:145], v[4:5]
	v_mul_u32_u24_e32 v6, 0xaaab, v61
	s_delay_alu instid0(VALU_DEP_1) | instskip(NEXT) | instid1(VALU_DEP_1)
	v_lshrrev_b32_e32 v154, 17, v6
	v_mul_lo_u16 v6, v154, 3
	s_delay_alu instid0(VALU_DEP_1) | instskip(NEXT) | instid1(VALU_DEP_1)
	v_sub_nc_u16 v155, v42, v6
	v_lshlrev_b16 v6, 1, v155
	s_delay_alu instid0(VALU_DEP_1) | instskip(NEXT) | instid1(VALU_DEP_1)
	v_and_b32_e32 v6, 0xffff, v6
	v_lshlrev_b32_e32 v6, 4, v6
	s_clause 0x1
	global_load_b128 v[132:135], v6, s[10:11]
	global_load_b128 v[136:139], v6, s[10:11] offset:16
	s_waitcnt vmcnt(1) lgkmcnt(0)
	v_mul_f64 v[6:7], v[64:65], v[134:135]
	v_mul_f64 v[46:47], v[62:63], v[134:135]
	s_delay_alu instid0(VALU_DEP_2) | instskip(NEXT) | instid1(VALU_DEP_2)
	v_fma_f64 v[6:7], v[62:63], v[132:133], -v[6:7]
	v_fma_f64 v[46:47], v[64:65], v[132:133], v[46:47]
	ds_load_b128 v[62:65], v131 offset:30240
	s_waitcnt vmcnt(0) lgkmcnt(0)
	v_mul_f64 v[48:49], v[64:65], v[138:139]
	v_mul_f64 v[50:51], v[62:63], v[138:139]
	s_delay_alu instid0(VALU_DEP_2) | instskip(NEXT) | instid1(VALU_DEP_2)
	v_fma_f64 v[48:49], v[62:63], v[136:137], -v[48:49]
	v_fma_f64 v[50:51], v[64:65], v[136:137], v[50:51]
	ds_load_b128 v[62:65], v131
	ds_load_b128 v[66:69], v131 offset:2160
	ds_load_b128 v[93:96], v131 offset:4320
	ds_load_b128 v[97:100], v131 offset:6480
	s_waitcnt lgkmcnt(3)
	v_fma_f64 v[54:55], v[54:55], -0.5, v[64:65]
	v_add_f64 v[58:59], v[62:63], v[12:13]
	v_add_f64 v[12:13], v[12:13], -v[16:17]
	v_fma_f64 v[52:53], v[52:53], -0.5, v[62:63]
	v_add_f64 v[56:57], v[64:65], v[14:15]
	v_add_f64 v[14:15], v[14:15], -v[18:19]
	v_add_f64 v[62:63], v[58:59], v[16:17]
	v_fma_f64 v[72:73], v[12:13], s[8:9], v[54:55]
	v_fma_f64 v[76:77], v[12:13], s[2:3], v[54:55]
	v_add_f64 v[12:13], v[20:21], v[28:29]
	v_fma_f64 v[70:71], v[14:15], s[2:3], v[52:53]
	v_fma_f64 v[74:75], v[14:15], s[8:9], v[52:53]
	v_add_f64 v[14:15], v[22:23], v[35:36]
	s_waitcnt lgkmcnt(2)
	v_add_f64 v[16:17], v[68:69], v[22:23]
	v_add_f64 v[22:23], v[22:23], -v[35:36]
	v_add_f64 v[64:65], v[56:57], v[18:19]
	v_add_f64 v[18:19], v[66:67], v[20:21]
	v_fma_f64 v[12:13], v[12:13], -0.5, v[66:67]
	v_fma_f64 v[14:15], v[14:15], -0.5, v[68:69]
	v_add_f64 v[68:69], v[16:17], v[35:36]
	v_add_f64 v[16:17], v[20:21], -v[28:29]
	v_add_f64 v[66:67], v[18:19], v[28:29]
	s_waitcnt lgkmcnt(1)
	v_add_f64 v[18:19], v[93:94], v[37:38]
	v_fma_f64 v[78:79], v[22:23], s[2:3], v[12:13]
	v_fma_f64 v[89:90], v[22:23], s[8:9], v[12:13]
	v_add_f64 v[12:13], v[37:38], v[10:11]
	v_fma_f64 v[80:81], v[16:17], s[8:9], v[14:15]
	v_fma_f64 v[91:92], v[16:17], s[2:3], v[14:15]
	v_add_f64 v[14:15], v[8:9], v[39:40]
	v_add_f64 v[16:17], v[95:96], v[8:9]
	v_add_f64 v[8:9], v[8:9], -v[39:40]
	v_fma_f64 v[12:13], v[12:13], -0.5, v[93:94]
	v_add_f64 v[93:94], v[18:19], v[10:11]
	v_add_f64 v[10:11], v[37:38], -v[10:11]
	v_mul_u32_u24_e32 v37, 0xe38f, v25
	v_fma_f64 v[14:15], v[14:15], -0.5, v[95:96]
	v_add_f64 v[95:96], v[16:17], v[39:40]
	v_mul_u32_u24_e32 v16, 0xe38f, v27
	v_fma_f64 v[101:102], v[8:9], s[2:3], v[12:13]
	v_fma_f64 v[105:106], v[8:9], s[8:9], v[12:13]
	v_add_f64 v[8:9], v[44:45], v[2:3]
	s_waitcnt lgkmcnt(0)
	v_add_f64 v[12:13], v[99:100], v[0:1]
	v_fma_f64 v[103:104], v[10:11], s[8:9], v[14:15]
	v_fma_f64 v[107:108], v[10:11], s[2:3], v[14:15]
	v_add_f64 v[10:11], v[0:1], v[4:5]
	v_add_f64 v[14:15], v[97:98], v[44:45]
	v_add_f64 v[0:1], v[0:1], -v[4:5]
	v_fma_f64 v[8:9], v[8:9], -0.5, v[97:98]
	s_delay_alu instid0(VALU_DEP_4) | instskip(NEXT) | instid1(VALU_DEP_4)
	v_fma_f64 v[10:11], v[10:11], -0.5, v[99:100]
	v_add_f64 v[97:98], v[14:15], v[2:3]
	v_add_f64 v[2:3], v[44:45], -v[2:3]
	v_add_f64 v[99:100], v[12:13], v[4:5]
	v_add_f64 v[4:5], v[33:34], v[46:47]
	v_fma_f64 v[109:110], v[0:1], s[2:3], v[8:9]
	v_fma_f64 v[113:114], v[0:1], s[8:9], v[8:9]
	v_add_f64 v[0:1], v[6:7], v[48:49]
	v_add_f64 v[8:9], v[31:32], v[6:7]
	v_fma_f64 v[111:112], v[2:3], s[8:9], v[10:11]
	v_fma_f64 v[115:116], v[2:3], s[2:3], v[10:11]
	v_add_f64 v[2:3], v[46:47], v[50:51]
	v_add_f64 v[10:11], v[46:47], -v[50:51]
	v_add_f64 v[119:120], v[4:5], v[50:51]
	v_add_f64 v[4:5], v[6:7], -v[48:49]
	v_fma_f64 v[0:1], v[0:1], -0.5, v[31:32]
	v_add_f64 v[117:118], v[8:9], v[48:49]
	v_fma_f64 v[2:3], v[2:3], -0.5, v[33:34]
	s_delay_alu instid0(VALU_DEP_3) | instskip(SKIP_2) | instid1(VALU_DEP_1)
	v_fma_f64 v[121:122], v[10:11], s[2:3], v[0:1]
	v_fma_f64 v[125:126], v[10:11], s[8:9], v[0:1]
	v_and_b32_e32 v0, 0xffff, v41
	v_mul_u32_u24_e32 v0, 9, v0
	v_fma_f64 v[123:124], v[4:5], s[8:9], v[2:3]
	v_fma_f64 v[127:128], v[4:5], s[2:3], v[2:3]
	s_delay_alu instid0(VALU_DEP_3)
	v_add_lshl_u32 v0, v0, v82, 4
	scratch_store_b32 off, v0, off offset:520 ; 4-byte Folded Spill
	s_waitcnt_vscnt null, 0x0
	s_barrier
	buffer_gl0_inv
	ds_store_b128 v0, v[62:65]
	ds_store_b128 v0, v[70:73] offset:48
	ds_store_b128 v0, v[74:77] offset:96
	v_mad_u16 v0, v83, 9, v85
	s_delay_alu instid0(VALU_DEP_1) | instskip(NEXT) | instid1(VALU_DEP_1)
	v_and_b32_e32 v0, 0xffff, v0
	v_lshlrev_b32_e32 v0, 4, v0
	scratch_store_b32 off, v0, off offset:516 ; 4-byte Folded Spill
	ds_store_b128 v0, v[66:69]
	ds_store_b128 v0, v[78:81] offset:48
	ds_store_b128 v0, v[89:92] offset:96
	v_mad_u16 v0, v86, 9, v87
	s_delay_alu instid0(VALU_DEP_1) | instskip(NEXT) | instid1(VALU_DEP_1)
	v_and_b32_e32 v0, 0xffff, v0
	v_lshlrev_b32_e32 v0, 4, v0
	scratch_store_b32 off, v0, off offset:512 ; 4-byte Folded Spill
	ds_store_b128 v0, v[93:96]
	ds_store_b128 v0, v[101:104] offset:48
	ds_store_b128 v0, v[105:108] offset:96
	v_mad_u16 v0, v152, 9, v153
	v_lshrrev_b32_e32 v152, 19, v16
	s_delay_alu instid0(VALU_DEP_2) | instskip(NEXT) | instid1(VALU_DEP_2)
	v_and_b32_e32 v0, 0xffff, v0
	v_mul_lo_u16 v16, v152, 9
	s_delay_alu instid0(VALU_DEP_2) | instskip(NEXT) | instid1(VALU_DEP_2)
	v_lshlrev_b32_e32 v0, 4, v0
	v_sub_nc_u16 v153, v30, v16
	scratch_store_b32 off, v0, off offset:508 ; 4-byte Folded Spill
	ds_store_b128 v0, v[97:100]
	ds_store_b128 v0, v[109:112] offset:48
	ds_store_b128 v0, v[113:116] offset:96
	v_mad_u16 v0, v154, 9, v155
	v_lshlrev_b16 v16, 6, v153
	v_lshrrev_b32_e32 v154, 19, v37
	s_delay_alu instid0(VALU_DEP_3) | instskip(NEXT) | instid1(VALU_DEP_3)
	v_and_b32_e32 v0, 0xffff, v0
	v_and_b32_e32 v16, 0xffff, v16
	s_delay_alu instid0(VALU_DEP_3) | instskip(NEXT) | instid1(VALU_DEP_3)
	v_mul_lo_u16 v37, v154, 9
	v_lshlrev_b32_e32 v0, 4, v0
	s_delay_alu instid0(VALU_DEP_3) | instskip(NEXT) | instid1(VALU_DEP_1)
	v_add_co_u32 v16, s12, s10, v16
	v_add_co_ci_u32_e64 v17, null, s11, 0, s12
	scratch_store_b32 off, v0, off offset:504 ; 4-byte Folded Spill
	ds_store_b128 v0, v[117:120]
	ds_store_b128 v0, v[121:124] offset:48
	ds_store_b128 v0, v[125:128] offset:96
	v_mul_lo_u16 v0, v24, 57
	s_waitcnt lgkmcnt(0)
	s_waitcnt_vscnt null, 0x0
	s_barrier
	buffer_gl0_inv
	v_sub_nc_u16 v155, v84, v37
	v_lshrrev_b16 v41, 9, v0
	s_delay_alu instid0(VALU_DEP_2) | instskip(NEXT) | instid1(VALU_DEP_2)
	v_lshlrev_b16 v37, 6, v155
	v_mul_lo_u16 v0, v41, 9
	s_delay_alu instid0(VALU_DEP_2) | instskip(NEXT) | instid1(VALU_DEP_2)
	v_and_b32_e32 v37, 0xffff, v37
	v_sub_nc_u16 v0, v26, v0
	s_delay_alu instid0(VALU_DEP_2) | instskip(NEXT) | instid1(VALU_DEP_2)
	v_add_co_u32 v37, s12, s10, v37
	v_and_b32_e32 v87, 0xff, v0
	v_add_co_ci_u32_e64 v38, null, s11, 0, s12
	s_mov_b32 s12, 0x4755a5e
	s_mov_b32 s13, 0x3fe2cf23
	s_delay_alu instid0(VALU_DEP_2)
	v_lshlrev_b32_e32 v8, 6, v87
	s_clause 0x1
	global_load_b128 v[196:199], v8, s[10:11] offset:96
	global_load_b128 v[188:191], v8, s[10:11] offset:112
	ds_load_b128 v[62:65], v131 offset:6480
	ds_load_b128 v[66:69], v131 offset:4320
	s_mov_b32 s14, s12
	s_waitcnt vmcnt(1) lgkmcnt(1)
	v_mul_f64 v[0:1], v[64:65], v[198:199]
	v_mul_f64 v[2:3], v[62:63], v[198:199]
	s_delay_alu instid0(VALU_DEP_2) | instskip(NEXT) | instid1(VALU_DEP_2)
	v_fma_f64 v[0:1], v[62:63], v[196:197], -v[0:1]
	v_fma_f64 v[2:3], v[64:65], v[196:197], v[2:3]
	ds_load_b128 v[62:65], v131 offset:12960
	ds_load_b128 v[70:73], v131 offset:15120
	s_clause 0x1
	global_load_b128 v[200:203], v8, s[10:11] offset:128
	global_load_b128 v[192:195], v8, s[10:11] offset:144
	s_waitcnt vmcnt(2) lgkmcnt(1)
	v_mul_f64 v[4:5], v[64:65], v[190:191]
	v_mul_f64 v[6:7], v[62:63], v[190:191]
	s_delay_alu instid0(VALU_DEP_2) | instskip(NEXT) | instid1(VALU_DEP_2)
	v_fma_f64 v[4:5], v[62:63], v[188:189], -v[4:5]
	v_fma_f64 v[6:7], v[64:65], v[188:189], v[6:7]
	ds_load_b128 v[62:65], v131 offset:19440
	ds_load_b128 v[74:77], v131 offset:17280
	v_add_f64 v[56:57], v[0:1], -v[4:5]
	s_waitcnt vmcnt(1) lgkmcnt(1)
	v_mul_f64 v[8:9], v[64:65], v[202:203]
	v_mul_f64 v[10:11], v[62:63], v[202:203]
	s_delay_alu instid0(VALU_DEP_2) | instskip(NEXT) | instid1(VALU_DEP_2)
	v_fma_f64 v[8:9], v[62:63], v[200:201], -v[8:9]
	v_fma_f64 v[10:11], v[64:65], v[200:201], v[10:11]
	ds_load_b128 v[62:65], v131 offset:25920
	ds_load_b128 v[78:81], v131 offset:28080
	s_clause 0x1
	global_load_b128 v[212:215], v[16:17], off offset:96
	global_load_b128 v[204:207], v[16:17], off offset:112
	s_waitcnt vmcnt(2) lgkmcnt(1)
	v_mul_f64 v[12:13], v[64:65], v[194:195]
	v_mul_f64 v[14:15], v[62:63], v[194:195]
	v_add_f64 v[85:86], v[6:7], -v[10:11]
	s_delay_alu instid0(VALU_DEP_3) | instskip(NEXT) | instid1(VALU_DEP_3)
	v_fma_f64 v[12:13], v[62:63], v[192:193], -v[12:13]
	v_fma_f64 v[14:15], v[64:65], v[192:193], v[14:15]
	ds_load_b128 v[62:65], v131 offset:8640
	ds_load_b128 v[89:92], v131 offset:10800
	s_clause 0x1
	global_load_b128 v[216:219], v[16:17], off offset:128
	global_load_b128 v[208:211], v[16:17], off offset:144
	v_add_f64 v[58:59], v[12:13], -v[8:9]
	v_add_f64 v[82:83], v[2:3], -v[14:15]
	s_delay_alu instid0(VALU_DEP_2)
	v_add_f64 v[56:57], v[56:57], v[58:59]
	v_add_f64 v[58:59], v[2:3], -v[6:7]
	s_waitcnt vmcnt(3) lgkmcnt(1)
	v_mul_f64 v[18:19], v[64:65], v[214:215]
	v_mul_f64 v[20:21], v[62:63], v[214:215]
	s_waitcnt vmcnt(2)
	v_mul_f64 v[22:23], v[72:73], v[206:207]
	v_mul_f64 v[28:29], v[70:71], v[206:207]
	s_delay_alu instid0(VALU_DEP_4) | instskip(NEXT) | instid1(VALU_DEP_4)
	v_fma_f64 v[18:19], v[62:63], v[212:213], -v[18:19]
	v_fma_f64 v[20:21], v[64:65], v[212:213], v[20:21]
	s_delay_alu instid0(VALU_DEP_4) | instskip(NEXT) | instid1(VALU_DEP_4)
	v_fma_f64 v[22:23], v[70:71], v[204:205], -v[22:23]
	v_fma_f64 v[28:29], v[72:73], v[204:205], v[28:29]
	ds_load_b128 v[62:65], v131 offset:21600
	ds_load_b128 v[70:73], v131 offset:23760
	s_clause 0x3
	global_load_b128 v[228:231], v[37:38], off offset:96
	global_load_b128 v[220:223], v[37:38], off offset:112
	;; [unrolled: 1-line block ×4, first 2 shown]
	s_waitcnt vmcnt(4)
	v_mul_f64 v[33:34], v[80:81], v[210:211]
	s_waitcnt lgkmcnt(1)
	v_mul_f64 v[16:17], v[64:65], v[218:219]
	v_mul_f64 v[31:32], v[62:63], v[218:219]
	;; [unrolled: 1-line block ×3, first 2 shown]
	s_delay_alu instid0(VALU_DEP_4) | instskip(NEXT) | instid1(VALU_DEP_4)
	v_fma_f64 v[33:34], v[78:79], v[208:209], -v[33:34]
	v_fma_f64 v[16:17], v[62:63], v[216:217], -v[16:17]
	s_delay_alu instid0(VALU_DEP_4)
	v_fma_f64 v[31:32], v[64:65], v[216:217], v[31:32]
	ds_load_b128 v[62:65], v131 offset:30240
	v_fma_f64 v[35:36], v[80:81], v[208:209], v[35:36]
	s_waitcnt vmcnt(3)
	v_mul_f64 v[39:40], v[91:92], v[230:231]
	s_waitcnt vmcnt(2)
	v_mul_f64 v[46:47], v[76:77], v[222:223]
	s_waitcnt vmcnt(0) lgkmcnt(0)
	v_mul_f64 v[52:53], v[64:65], v[226:227]
	v_mul_f64 v[37:38], v[72:73], v[234:235]
	;; [unrolled: 1-line block ×6, first 2 shown]
	v_fma_f64 v[39:40], v[89:90], v[228:229], -v[39:40]
	v_fma_f64 v[46:47], v[74:75], v[220:221], -v[46:47]
	v_fma_f64 v[52:53], v[62:63], v[224:225], -v[52:53]
	v_add_f64 v[62:63], v[14:15], -v[10:11]
	v_add_f64 v[74:75], v[4:5], v[8:9]
	v_fma_f64 v[37:38], v[70:71], v[232:233], -v[37:38]
	v_fma_f64 v[50:51], v[72:73], v[232:233], v[50:51]
	v_fma_f64 v[54:55], v[64:65], v[224:225], v[54:55]
	v_add_f64 v[89:90], v[0:1], -v[12:13]
	v_fma_f64 v[44:45], v[91:92], v[228:229], v[44:45]
	v_fma_f64 v[48:49], v[76:77], v[220:221], v[48:49]
	v_add_f64 v[91:92], v[4:5], -v[8:9]
	v_add_f64 v[58:59], v[58:59], v[62:63]
	ds_load_b128 v[62:65], v131
	ds_load_b128 v[70:73], v131 offset:2160
	s_waitcnt lgkmcnt(0)
	s_barrier
	buffer_gl0_inv
	v_fma_f64 v[78:79], v[74:75], -0.5, v[62:63]
	v_add_f64 v[74:75], v[6:7], v[10:11]
	s_delay_alu instid0(VALU_DEP_1) | instskip(NEXT) | instid1(VALU_DEP_3)
	v_fma_f64 v[80:81], v[74:75], -0.5, v[64:65]
	v_fma_f64 v[74:75], v[82:83], s[16:17], v[78:79]
	v_fma_f64 v[78:79], v[82:83], s[18:19], v[78:79]
	s_delay_alu instid0(VALU_DEP_3) | instskip(SKIP_1) | instid1(VALU_DEP_4)
	v_fma_f64 v[76:77], v[89:90], s[18:19], v[80:81]
	v_fma_f64 v[80:81], v[89:90], s[16:17], v[80:81]
	v_fma_f64 v[74:75], v[85:86], s[12:13], v[74:75]
	s_delay_alu instid0(VALU_DEP_4) | instskip(NEXT) | instid1(VALU_DEP_4)
	v_fma_f64 v[78:79], v[85:86], s[14:15], v[78:79]
	v_fma_f64 v[76:77], v[91:92], s[14:15], v[76:77]
	s_delay_alu instid0(VALU_DEP_4) | instskip(NEXT) | instid1(VALU_DEP_4)
	v_fma_f64 v[80:81], v[91:92], s[12:13], v[80:81]
	v_fma_f64 v[74:75], v[56:57], s[20:21], v[74:75]
	s_delay_alu instid0(VALU_DEP_4) | instskip(SKIP_4) | instid1(VALU_DEP_4)
	v_fma_f64 v[78:79], v[56:57], s[20:21], v[78:79]
	v_add_f64 v[56:57], v[0:1], v[12:13]
	v_fma_f64 v[76:77], v[58:59], s[20:21], v[76:77]
	v_fma_f64 v[80:81], v[58:59], s[20:21], v[80:81]
	v_add_f64 v[58:59], v[2:3], v[14:15]
	v_fma_f64 v[56:57], v[56:57], -0.5, v[62:63]
	v_add_f64 v[62:63], v[62:63], v[0:1]
	v_add_f64 v[0:1], v[4:5], -v[0:1]
	s_delay_alu instid0(VALU_DEP_4) | instskip(SKIP_3) | instid1(VALU_DEP_3)
	v_fma_f64 v[58:59], v[58:59], -0.5, v[64:65]
	v_add_f64 v[64:65], v[64:65], v[2:3]
	v_add_f64 v[2:3], v[6:7], -v[2:3]
	v_add_f64 v[62:63], v[62:63], v[4:5]
	v_add_f64 v[6:7], v[64:65], v[6:7]
	s_delay_alu instid0(VALU_DEP_2) | instskip(SKIP_1) | instid1(VALU_DEP_3)
	v_add_f64 v[4:5], v[62:63], v[8:9]
	v_add_f64 v[8:9], v[8:9], -v[12:13]
	v_add_f64 v[6:7], v[6:7], v[10:11]
	s_delay_alu instid0(VALU_DEP_3)
	v_add_f64 v[62:63], v[4:5], v[12:13]
	v_add_f64 v[4:5], v[10:11], -v[14:15]
	v_fma_f64 v[10:11], v[85:86], s[16:17], v[56:57]
	v_fma_f64 v[12:13], v[91:92], s[16:17], v[58:59]
	v_add_f64 v[0:1], v[0:1], v[8:9]
	v_add_f64 v[64:65], v[6:7], v[14:15]
	v_fma_f64 v[6:7], v[85:86], s[18:19], v[56:57]
	v_fma_f64 v[14:15], v[91:92], s[18:19], v[58:59]
	v_add_f64 v[2:3], v[2:3], v[4:5]
	v_add_f64 v[56:57], v[22:23], -v[16:17]
	v_fma_f64 v[8:9], v[89:90], s[14:15], v[12:13]
	v_fma_f64 v[4:5], v[82:83], s[12:13], v[6:7]
	v_fma_f64 v[6:7], v[82:83], s[14:15], v[10:11]
	v_fma_f64 v[10:11], v[89:90], s[12:13], v[14:15]
	v_add_f64 v[14:15], v[18:19], -v[33:34]
	v_fma_f64 v[91:92], v[2:3], s[20:21], v[8:9]
	v_add_f64 v[8:9], v[20:21], -v[35:36]
	v_fma_f64 v[89:90], v[0:1], s[20:21], v[4:5]
	v_fma_f64 v[93:94], v[0:1], s[20:21], v[6:7]
	;; [unrolled: 1-line block ×3, first 2 shown]
	v_add_f64 v[0:1], v[18:19], -v[22:23]
	v_add_f64 v[2:3], v[33:34], -v[16:17]
	v_add_f64 v[4:5], v[35:36], -v[31:32]
	v_add_f64 v[6:7], v[28:29], v[31:32]
	v_add_f64 v[10:11], v[28:29], -v[31:32]
	s_delay_alu instid0(VALU_DEP_4) | instskip(SKIP_1) | instid1(VALU_DEP_4)
	v_add_f64 v[0:1], v[0:1], v[2:3]
	v_add_f64 v[2:3], v[20:21], -v[28:29]
	v_fma_f64 v[6:7], v[6:7], -0.5, v[72:73]
	s_delay_alu instid0(VALU_DEP_2) | instskip(SKIP_1) | instid1(VALU_DEP_3)
	v_add_f64 v[2:3], v[2:3], v[4:5]
	v_add_f64 v[4:5], v[22:23], v[16:17]
	v_fma_f64 v[58:59], v[14:15], s[18:19], v[6:7]
	v_fma_f64 v[6:7], v[14:15], s[16:17], v[6:7]
	s_delay_alu instid0(VALU_DEP_3) | instskip(NEXT) | instid1(VALU_DEP_3)
	v_fma_f64 v[4:5], v[4:5], -0.5, v[70:71]
	v_fma_f64 v[58:59], v[56:57], s[14:15], v[58:59]
	s_delay_alu instid0(VALU_DEP_3) | instskip(NEXT) | instid1(VALU_DEP_3)
	v_fma_f64 v[6:7], v[56:57], s[12:13], v[6:7]
	v_fma_f64 v[12:13], v[8:9], s[16:17], v[4:5]
	;; [unrolled: 1-line block ×3, first 2 shown]
	s_delay_alu instid0(VALU_DEP_3)
	v_fma_f64 v[103:104], v[2:3], s[20:21], v[6:7]
	v_add_f64 v[6:7], v[70:71], v[18:19]
	v_fma_f64 v[99:100], v[2:3], s[20:21], v[58:59]
	v_add_f64 v[2:3], v[20:21], v[35:36]
	v_fma_f64 v[12:13], v[10:11], s[12:13], v[12:13]
	v_fma_f64 v[4:5], v[10:11], s[14:15], v[4:5]
	v_add_f64 v[6:7], v[6:7], v[22:23]
	s_delay_alu instid0(VALU_DEP_4) | instskip(NEXT) | instid1(VALU_DEP_4)
	v_fma_f64 v[2:3], v[2:3], -0.5, v[72:73]
	v_fma_f64 v[97:98], v[0:1], s[20:21], v[12:13]
	s_delay_alu instid0(VALU_DEP_4)
	v_fma_f64 v[101:102], v[0:1], s[20:21], v[4:5]
	v_add_f64 v[4:5], v[72:73], v[20:21]
	v_add_f64 v[0:1], v[18:19], v[33:34]
	;; [unrolled: 1-line block ×3, first 2 shown]
	v_add_f64 v[12:13], v[28:29], -v[20:21]
	v_add_f64 v[18:19], v[22:23], -v[18:19]
	;; [unrolled: 1-line block ×4, first 2 shown]
	v_add_f64 v[4:5], v[4:5], v[28:29]
	v_fma_f64 v[0:1], v[0:1], -0.5, v[70:71]
	v_add_f64 v[70:71], v[6:7], v[33:34]
	v_add_f64 v[16:17], v[18:19], v[16:17]
	s_delay_alu instid0(VALU_DEP_4) | instskip(NEXT) | instid1(VALU_DEP_4)
	v_add_f64 v[4:5], v[4:5], v[31:32]
	v_fma_f64 v[6:7], v[10:11], s[18:19], v[0:1]
	v_fma_f64 v[0:1], v[10:11], s[16:17], v[0:1]
	;; [unrolled: 1-line block ×4, first 2 shown]
	v_add_f64 v[72:73], v[4:5], v[35:36]
	v_add_f64 v[4:5], v[31:32], -v[35:36]
	v_fma_f64 v[0:1], v[8:9], s[14:15], v[0:1]
	v_fma_f64 v[6:7], v[8:9], s[12:13], v[6:7]
	;; [unrolled: 1-line block ×4, first 2 shown]
	v_add_f64 v[14:15], v[46:47], -v[37:38]
	v_add_f64 v[10:11], v[44:45], -v[54:55]
	v_add_f64 v[4:5], v[12:13], v[4:5]
	v_fma_f64 v[109:110], v[16:17], s[20:21], v[0:1]
	v_add_f64 v[0:1], v[46:47], -v[39:40]
	v_fma_f64 v[105:106], v[16:17], s[20:21], v[6:7]
	v_add_f64 v[6:7], v[44:45], v[54:55]
	v_add_f64 v[16:17], v[39:40], -v[52:53]
	v_fma_f64 v[111:112], v[4:5], s[20:21], v[2:3]
	v_add_f64 v[2:3], v[37:38], -v[52:53]
	v_fma_f64 v[107:108], v[4:5], s[20:21], v[8:9]
	v_add_f64 v[4:5], v[50:51], -v[54:55]
	v_fma_f64 v[6:7], v[6:7], -0.5, v[68:69]
	v_add_f64 v[8:9], v[48:49], -v[50:51]
	v_add_f64 v[0:1], v[0:1], v[2:3]
	v_add_f64 v[2:3], v[48:49], -v[44:45]
	s_delay_alu instid0(VALU_DEP_4) | instskip(SKIP_1) | instid1(VALU_DEP_3)
	v_fma_f64 v[18:19], v[14:15], s[16:17], v[6:7]
	v_fma_f64 v[6:7], v[14:15], s[18:19], v[6:7]
	v_add_f64 v[2:3], v[2:3], v[4:5]
	v_add_f64 v[4:5], v[39:40], v[52:53]
	s_delay_alu instid0(VALU_DEP_4) | instskip(NEXT) | instid1(VALU_DEP_4)
	v_fma_f64 v[18:19], v[16:17], s[14:15], v[18:19]
	v_fma_f64 v[6:7], v[16:17], s[12:13], v[6:7]
	s_delay_alu instid0(VALU_DEP_3) | instskip(NEXT) | instid1(VALU_DEP_3)
	v_fma_f64 v[4:5], v[4:5], -0.5, v[66:67]
	v_fma_f64 v[115:116], v[2:3], s[20:21], v[18:19]
	s_delay_alu instid0(VALU_DEP_3)
	v_fma_f64 v[119:120], v[2:3], s[20:21], v[6:7]
	v_add_f64 v[6:7], v[66:67], v[39:40]
	v_add_f64 v[2:3], v[48:49], v[50:51]
	v_add_f64 v[18:19], v[39:40], -v[46:47]
	v_fma_f64 v[12:13], v[8:9], s[18:19], v[4:5]
	v_fma_f64 v[4:5], v[8:9], s[16:17], v[4:5]
	v_add_f64 v[6:7], v[6:7], v[46:47]
	v_fma_f64 v[2:3], v[2:3], -0.5, v[68:69]
	s_delay_alu instid0(VALU_DEP_4) | instskip(NEXT) | instid1(VALU_DEP_4)
	v_fma_f64 v[12:13], v[10:11], s[12:13], v[12:13]
	v_fma_f64 v[4:5], v[10:11], s[14:15], v[4:5]
	s_delay_alu instid0(VALU_DEP_4) | instskip(NEXT) | instid1(VALU_DEP_3)
	v_add_f64 v[6:7], v[6:7], v[37:38]
	v_fma_f64 v[113:114], v[0:1], s[20:21], v[12:13]
	s_delay_alu instid0(VALU_DEP_3) | instskip(SKIP_3) | instid1(VALU_DEP_3)
	v_fma_f64 v[117:118], v[0:1], s[20:21], v[4:5]
	v_add_f64 v[4:5], v[68:69], v[44:45]
	v_add_f64 v[0:1], v[46:47], v[37:38]
	v_add_f64 v[12:13], v[44:45], -v[48:49]
	v_add_f64 v[4:5], v[4:5], v[48:49]
	s_delay_alu instid0(VALU_DEP_3) | instskip(SKIP_1) | instid1(VALU_DEP_3)
	v_fma_f64 v[0:1], v[0:1], -0.5, v[66:67]
	v_add_f64 v[66:67], v[6:7], v[52:53]
	v_add_f64 v[4:5], v[4:5], v[50:51]
	s_delay_alu instid0(VALU_DEP_3)
	v_fma_f64 v[6:7], v[10:11], s[16:17], v[0:1]
	v_fma_f64 v[0:1], v[10:11], s[18:19], v[0:1]
	;; [unrolled: 1-line block ×4, first 2 shown]
	v_add_f64 v[16:17], v[18:19], v[20:21]
	v_add_f64 v[68:69], v[4:5], v[54:55]
	v_add_f64 v[4:5], v[54:55], -v[50:51]
	v_fma_f64 v[0:1], v[8:9], s[14:15], v[0:1]
	v_fma_f64 v[6:7], v[8:9], s[12:13], v[6:7]
	;; [unrolled: 1-line block ×4, first 2 shown]
	v_add_f64 v[4:5], v[12:13], v[4:5]
	v_fma_f64 v[125:126], v[16:17], s[20:21], v[0:1]
	v_and_b32_e32 v0, 0xffff, v41
	v_fma_f64 v[121:122], v[16:17], s[20:21], v[6:7]
	s_delay_alu instid0(VALU_DEP_2) | instskip(NEXT) | instid1(VALU_DEP_1)
	v_mul_u32_u24_e32 v0, 45, v0
	v_add_lshl_u32 v38, v0, v87, 4
	v_mad_u16 v0, v152, 45, v153
	ds_store_b128 v38, v[62:65]
	ds_store_b128 v38, v[74:77] offset:144
	ds_store_b128 v38, v[89:92] offset:288
	ds_store_b128 v38, v[93:96] offset:432
	ds_store_b128 v38, v[78:81] offset:576
	v_and_b32_e32 v0, 0xffff, v0
	s_delay_alu instid0(VALU_DEP_1)
	v_lshlrev_b32_e32 v0, 4, v0
	scratch_store_b32 off, v0, off offset:500 ; 4-byte Folded Spill
	ds_store_b128 v0, v[70:73]
	ds_store_b128 v0, v[97:100] offset:144
	ds_store_b128 v0, v[105:108] offset:288
	;; [unrolled: 1-line block ×4, first 2 shown]
	v_mad_u16 v0, v154, 45, v155
	s_delay_alu instid0(VALU_DEP_1) | instskip(SKIP_2) | instid1(VALU_DEP_3)
	v_and_b32_e32 v0, 0xffff, v0
	v_fma_f64 v[123:124], v[4:5], s[20:21], v[8:9]
	v_fma_f64 v[127:128], v[4:5], s[20:21], v[2:3]
	v_lshlrev_b32_e32 v0, 4, v0
	scratch_store_b32 off, v0, off offset:496 ; 4-byte Folded Spill
	ds_store_b128 v0, v[66:69]
	ds_store_b128 v0, v[121:124] offset:144
	ds_store_b128 v0, v[113:116] offset:288
	;; [unrolled: 1-line block ×4, first 2 shown]
	v_mul_lo_u16 v0, 0x6d, v24
	s_waitcnt lgkmcnt(0)
	s_waitcnt_vscnt null, 0x0
	s_barrier
	buffer_gl0_inv
	v_lshrrev_b16 v0, 8, v0
	s_delay_alu instid0(VALU_DEP_1) | instskip(NEXT) | instid1(VALU_DEP_1)
	v_sub_nc_u16 v1, v26, v0
	v_lshrrev_b16 v1, 1, v1
	s_delay_alu instid0(VALU_DEP_1) | instskip(NEXT) | instid1(VALU_DEP_1)
	v_and_b32_e32 v1, 0x7f, v1
	v_add_nc_u16 v0, v1, v0
	s_delay_alu instid0(VALU_DEP_1) | instskip(NEXT) | instid1(VALU_DEP_1)
	v_lshrrev_b16 v29, 5, v0
	v_mul_lo_u16 v0, v29, 45
	s_delay_alu instid0(VALU_DEP_1) | instskip(NEXT) | instid1(VALU_DEP_1)
	v_sub_nc_u16 v0, v26, v0
	v_and_b32_e32 v35, 0xff, v0
	s_delay_alu instid0(VALU_DEP_1)
	v_lshlrev_b32_e32 v8, 6, v35
	s_clause 0x1
	global_load_b128 v[9:12], v8, s[10:11] offset:672
	global_load_b128 v[4:7], v8, s[10:11] offset:688
	s_waitcnt vmcnt(1)
	scratch_store_b128 off, v[9:12], off offset:456 ; 16-byte Folded Spill
	ds_load_b128 v[62:65], v131 offset:6480
	ds_load_b128 v[66:69], v131 offset:4320
	s_waitcnt lgkmcnt(1)
	v_mul_f64 v[0:1], v[64:65], v[11:12]
	v_mul_f64 v[2:3], v[62:63], v[11:12]
	s_delay_alu instid0(VALU_DEP_2) | instskip(NEXT) | instid1(VALU_DEP_2)
	v_fma_f64 v[0:1], v[62:63], v[9:10], -v[0:1]
	v_fma_f64 v[2:3], v[64:65], v[9:10], v[2:3]
	s_waitcnt vmcnt(0)
	v_dual_mov_b32 v12, v7 :: v_dual_mov_b32 v11, v6
	v_dual_mov_b32 v10, v5 :: v_dual_mov_b32 v9, v4
	ds_load_b128 v[62:65], v131 offset:12960
	ds_load_b128 v[70:73], v131 offset:15120
	v_mul_u32_u24_e32 v24, 0x2d83, v25
	scratch_store_b128 off, v[9:12], off offset:440 ; 16-byte Folded Spill
	s_clause 0x1
	global_load_b128 v[152:155], v8, s[10:11] offset:704
	global_load_b128 v[16:19], v8, s[10:11] offset:720
	v_lshrrev_b32_e32 v41, 19, v24
	s_delay_alu instid0(VALU_DEP_1) | instskip(NEXT) | instid1(VALU_DEP_1)
	v_mul_lo_u16 v24, v41, 45
	v_sub_nc_u16 v87, v84, v24
	s_waitcnt lgkmcnt(1)
	v_mul_f64 v[4:5], v[64:65], v[11:12]
	v_mul_f64 v[6:7], v[62:63], v[11:12]
	s_delay_alu instid0(VALU_DEP_3) | instskip(NEXT) | instid1(VALU_DEP_1)
	v_lshlrev_b16 v24, 6, v87
	v_and_b32_e32 v24, 0xffff, v24
	s_delay_alu instid0(VALU_DEP_4) | instskip(NEXT) | instid1(VALU_DEP_4)
	v_fma_f64 v[4:5], v[62:63], v[9:10], -v[4:5]
	v_fma_f64 v[6:7], v[64:65], v[9:10], v[6:7]
	ds_load_b128 v[62:65], v131 offset:19440
	ds_load_b128 v[74:77], v131 offset:17280
	v_add_f64 v[58:59], v[0:1], -v[4:5]
	s_waitcnt vmcnt(1) lgkmcnt(1)
	v_mul_f64 v[8:9], v[64:65], v[154:155]
	v_mul_f64 v[10:11], v[62:63], v[154:155]
	s_delay_alu instid0(VALU_DEP_2) | instskip(NEXT) | instid1(VALU_DEP_2)
	v_fma_f64 v[8:9], v[62:63], v[152:153], -v[8:9]
	v_fma_f64 v[10:11], v[64:65], v[152:153], v[10:11]
	ds_load_b128 v[62:65], v131 offset:25920
	ds_load_b128 v[78:81], v131 offset:28080
	s_waitcnt vmcnt(0)
	scratch_store_b128 off, v[16:19], off offset:472 ; 16-byte Folded Spill
	s_waitcnt lgkmcnt(1)
	v_mul_f64 v[12:13], v[64:65], v[18:19]
	v_mul_f64 v[14:15], v[62:63], v[18:19]
	v_add_f64 v[93:94], v[4:5], -v[8:9]
	s_delay_alu instid0(VALU_DEP_3) | instskip(NEXT) | instid1(VALU_DEP_3)
	v_fma_f64 v[12:13], v[62:63], v[16:17], -v[12:13]
	v_fma_f64 v[14:15], v[64:65], v[16:17], v[14:15]
	v_mul_u32_u24_e32 v16, 0x2d83, v27
	s_delay_alu instid0(VALU_DEP_1) | instskip(NEXT) | instid1(VALU_DEP_1)
	v_lshrrev_b32_e32 v36, 19, v16
	v_mul_lo_u16 v16, v36, 45
	s_delay_alu instid0(VALU_DEP_1) | instskip(NEXT) | instid1(VALU_DEP_1)
	v_sub_nc_u16 v37, v30, v16
	v_lshlrev_b16 v16, 6, v37
	s_delay_alu instid0(VALU_DEP_1) | instskip(NEXT) | instid1(VALU_DEP_1)
	v_and_b32_e32 v16, 0xffff, v16
	v_add_co_u32 v16, s22, s10, v16
	s_delay_alu instid0(VALU_DEP_1)
	v_add_co_ci_u32_e64 v17, null, s11, 0, s22
	s_clause 0x1
	global_load_b128 v[164:167], v[16:17], off offset:672
	global_load_b128 v[156:159], v[16:17], off offset:688
	ds_load_b128 v[62:65], v131 offset:8640
	ds_load_b128 v[89:92], v131 offset:10800
	s_clause 0x1
	global_load_b128 v[168:171], v[16:17], off offset:704
	global_load_b128 v[160:163], v[16:17], off offset:720
	v_add_co_u32 v24, s22, s10, v24
	s_delay_alu instid0(VALU_DEP_1)
	v_add_co_ci_u32_e64 v25, null, s11, 0, s22
	v_add_f64 v[85:86], v[2:3], -v[14:15]
	s_waitcnt vmcnt(3) lgkmcnt(1)
	v_mul_f64 v[18:19], v[64:65], v[166:167]
	v_mul_f64 v[20:21], v[62:63], v[166:167]
	s_waitcnt vmcnt(2)
	v_mul_f64 v[22:23], v[72:73], v[158:159]
	v_mul_f64 v[27:28], v[70:71], v[158:159]
	s_waitcnt vmcnt(0)
	v_mul_f64 v[39:40], v[78:79], v[162:163]
	v_mul_f64 v[33:34], v[80:81], v[162:163]
	v_fma_f64 v[18:19], v[62:63], v[164:165], -v[18:19]
	v_fma_f64 v[20:21], v[64:65], v[164:165], v[20:21]
	v_fma_f64 v[22:23], v[70:71], v[156:157], -v[22:23]
	v_fma_f64 v[27:28], v[72:73], v[156:157], v[27:28]
	ds_load_b128 v[62:65], v131 offset:21600
	ds_load_b128 v[70:73], v131 offset:23760
	s_clause 0x3
	global_load_b128 v[180:183], v[24:25], off offset:672
	global_load_b128 v[172:175], v[24:25], off offset:688
	;; [unrolled: 1-line block ×4, first 2 shown]
	v_fma_f64 v[39:40], v[80:81], v[160:161], v[39:40]
	v_fma_f64 v[33:34], v[78:79], v[160:161], -v[33:34]
	s_waitcnt lgkmcnt(1)
	v_mul_f64 v[16:17], v[64:65], v[170:171]
	v_mul_f64 v[31:32], v[62:63], v[170:171]
	s_delay_alu instid0(VALU_DEP_2) | instskip(NEXT) | instid1(VALU_DEP_2)
	v_fma_f64 v[16:17], v[62:63], v[168:169], -v[16:17]
	v_fma_f64 v[31:32], v[64:65], v[168:169], v[31:32]
	ds_load_b128 v[62:65], v131 offset:30240
	s_waitcnt vmcnt(3)
	v_mul_f64 v[46:47], v[89:90], v[182:183]
	s_waitcnt vmcnt(2)
	v_mul_f64 v[48:49], v[76:77], v[174:175]
	s_waitcnt vmcnt(0) lgkmcnt(0)
	v_mul_f64 v[54:55], v[64:65], v[178:179]
	v_mul_f64 v[56:57], v[62:63], v[178:179]
	;; [unrolled: 1-line block ×6, first 2 shown]
	v_fma_f64 v[46:47], v[91:92], v[180:181], v[46:47]
	v_fma_f64 v[48:49], v[74:75], v[172:173], -v[48:49]
	v_fma_f64 v[54:55], v[62:63], v[176:177], -v[54:55]
	v_add_f64 v[62:63], v[12:13], -v[8:9]
	v_fma_f64 v[56:57], v[64:65], v[176:177], v[56:57]
	v_add_f64 v[64:65], v[14:15], -v[10:11]
	v_add_f64 v[74:75], v[4:5], v[8:9]
	v_fma_f64 v[24:25], v[70:71], v[184:185], -v[24:25]
	v_fma_f64 v[52:53], v[72:73], v[184:185], v[52:53]
	v_add_f64 v[91:92], v[0:1], -v[12:13]
	v_fma_f64 v[44:45], v[89:90], v[180:181], -v[44:45]
	v_fma_f64 v[50:51], v[76:77], v[172:173], v[50:51]
	v_add_f64 v[89:90], v[6:7], -v[10:11]
	v_add_f64 v[58:59], v[58:59], v[62:63]
	v_add_f64 v[62:63], v[2:3], -v[6:7]
	s_delay_alu instid0(VALU_DEP_1)
	v_add_f64 v[80:81], v[62:63], v[64:65]
	ds_load_b128 v[62:65], v131
	ds_load_b128 v[70:73], v131 offset:2160
	s_waitcnt lgkmcnt(1)
	v_fma_f64 v[78:79], v[74:75], -0.5, v[62:63]
	v_add_f64 v[74:75], v[6:7], v[10:11]
	s_delay_alu instid0(VALU_DEP_1) | instskip(NEXT) | instid1(VALU_DEP_3)
	v_fma_f64 v[82:83], v[74:75], -0.5, v[64:65]
	v_fma_f64 v[74:75], v[85:86], s[16:17], v[78:79]
	v_fma_f64 v[78:79], v[85:86], s[18:19], v[78:79]
	s_delay_alu instid0(VALU_DEP_3) | instskip(SKIP_1) | instid1(VALU_DEP_4)
	v_fma_f64 v[76:77], v[91:92], s[18:19], v[82:83]
	v_fma_f64 v[82:83], v[91:92], s[16:17], v[82:83]
	;; [unrolled: 1-line block ×3, first 2 shown]
	s_delay_alu instid0(VALU_DEP_4) | instskip(NEXT) | instid1(VALU_DEP_4)
	v_fma_f64 v[78:79], v[89:90], s[14:15], v[78:79]
	v_fma_f64 v[76:77], v[93:94], s[14:15], v[76:77]
	s_delay_alu instid0(VALU_DEP_4) | instskip(NEXT) | instid1(VALU_DEP_4)
	v_fma_f64 v[82:83], v[93:94], s[12:13], v[82:83]
	v_fma_f64 v[74:75], v[58:59], s[20:21], v[74:75]
	s_delay_alu instid0(VALU_DEP_4) | instskip(SKIP_4) | instid1(VALU_DEP_4)
	v_fma_f64 v[78:79], v[58:59], s[20:21], v[78:79]
	v_add_f64 v[58:59], v[0:1], v[12:13]
	v_fma_f64 v[76:77], v[80:81], s[20:21], v[76:77]
	v_fma_f64 v[80:81], v[80:81], s[20:21], v[82:83]
	v_add_f64 v[82:83], v[2:3], v[14:15]
	v_fma_f64 v[58:59], v[58:59], -0.5, v[62:63]
	v_add_f64 v[62:63], v[62:63], v[0:1]
	v_add_f64 v[0:1], v[4:5], -v[0:1]
	s_delay_alu instid0(VALU_DEP_4) | instskip(SKIP_3) | instid1(VALU_DEP_3)
	v_fma_f64 v[82:83], v[82:83], -0.5, v[64:65]
	v_add_f64 v[64:65], v[64:65], v[2:3]
	v_add_f64 v[2:3], v[6:7], -v[2:3]
	v_add_f64 v[4:5], v[62:63], v[4:5]
	v_add_f64 v[62:63], v[64:65], v[6:7]
	s_delay_alu instid0(VALU_DEP_2) | instskip(SKIP_1) | instid1(VALU_DEP_3)
	v_add_f64 v[4:5], v[4:5], v[8:9]
	v_add_f64 v[8:9], v[8:9], -v[12:13]
	v_add_f64 v[6:7], v[62:63], v[10:11]
	s_delay_alu instid0(VALU_DEP_3)
	v_add_f64 v[62:63], v[4:5], v[12:13]
	v_add_f64 v[4:5], v[10:11], -v[14:15]
	v_fma_f64 v[10:11], v[89:90], s[16:17], v[58:59]
	v_fma_f64 v[12:13], v[93:94], s[16:17], v[82:83]
	v_add_f64 v[0:1], v[0:1], v[8:9]
	v_add_f64 v[64:65], v[6:7], v[14:15]
	v_fma_f64 v[6:7], v[89:90], s[18:19], v[58:59]
	v_fma_f64 v[14:15], v[93:94], s[18:19], v[82:83]
	v_add_f64 v[2:3], v[2:3], v[4:5]
	v_add_f64 v[58:59], v[22:23], -v[16:17]
	v_fma_f64 v[8:9], v[91:92], s[14:15], v[12:13]
	v_fma_f64 v[4:5], v[85:86], s[12:13], v[6:7]
	;; [unrolled: 1-line block ×4, first 2 shown]
	v_add_f64 v[14:15], v[18:19], -v[33:34]
	v_fma_f64 v[91:92], v[2:3], s[20:21], v[8:9]
	v_add_f64 v[8:9], v[20:21], -v[39:40]
	v_fma_f64 v[89:90], v[0:1], s[20:21], v[4:5]
	v_fma_f64 v[93:94], v[0:1], s[20:21], v[6:7]
	;; [unrolled: 1-line block ×3, first 2 shown]
	v_add_f64 v[0:1], v[18:19], -v[22:23]
	v_add_f64 v[2:3], v[33:34], -v[16:17]
	;; [unrolled: 1-line block ×3, first 2 shown]
	v_add_f64 v[6:7], v[27:28], v[31:32]
	v_add_f64 v[10:11], v[27:28], -v[31:32]
	s_delay_alu instid0(VALU_DEP_4) | instskip(SKIP_2) | instid1(VALU_DEP_4)
	v_add_f64 v[0:1], v[0:1], v[2:3]
	v_add_f64 v[2:3], v[20:21], -v[27:28]
	s_waitcnt lgkmcnt(0)
	v_fma_f64 v[6:7], v[6:7], -0.5, v[72:73]
	s_delay_alu instid0(VALU_DEP_2) | instskip(SKIP_1) | instid1(VALU_DEP_3)
	v_add_f64 v[2:3], v[2:3], v[4:5]
	v_add_f64 v[4:5], v[22:23], v[16:17]
	v_fma_f64 v[82:83], v[14:15], s[18:19], v[6:7]
	v_fma_f64 v[6:7], v[14:15], s[16:17], v[6:7]
	s_delay_alu instid0(VALU_DEP_3) | instskip(NEXT) | instid1(VALU_DEP_3)
	v_fma_f64 v[4:5], v[4:5], -0.5, v[70:71]
	v_fma_f64 v[82:83], v[58:59], s[14:15], v[82:83]
	s_delay_alu instid0(VALU_DEP_3) | instskip(NEXT) | instid1(VALU_DEP_3)
	v_fma_f64 v[6:7], v[58:59], s[12:13], v[6:7]
	v_fma_f64 v[12:13], v[8:9], s[16:17], v[4:5]
	v_fma_f64 v[4:5], v[8:9], s[18:19], v[4:5]
	s_delay_alu instid0(VALU_DEP_3)
	v_fma_f64 v[103:104], v[2:3], s[20:21], v[6:7]
	v_add_f64 v[6:7], v[72:73], v[20:21]
	v_fma_f64 v[99:100], v[2:3], s[20:21], v[82:83]
	v_add_f64 v[2:3], v[20:21], v[39:40]
	v_fma_f64 v[12:13], v[10:11], s[12:13], v[12:13]
	v_fma_f64 v[4:5], v[10:11], s[14:15], v[4:5]
	v_add_f64 v[6:7], v[6:7], v[27:28]
	s_delay_alu instid0(VALU_DEP_4) | instskip(NEXT) | instid1(VALU_DEP_4)
	v_fma_f64 v[2:3], v[2:3], -0.5, v[72:73]
	v_fma_f64 v[97:98], v[0:1], s[20:21], v[12:13]
	s_delay_alu instid0(VALU_DEP_4)
	v_fma_f64 v[101:102], v[0:1], s[20:21], v[4:5]
	v_add_f64 v[4:5], v[70:71], v[18:19]
	v_add_f64 v[0:1], v[18:19], v[33:34]
	;; [unrolled: 1-line block ×3, first 2 shown]
	v_add_f64 v[12:13], v[22:23], -v[18:19]
	v_add_f64 v[18:19], v[27:28], -v[20:21]
	;; [unrolled: 1-line block ×3, first 2 shown]
	v_add_f64 v[4:5], v[4:5], v[22:23]
	v_fma_f64 v[0:1], v[0:1], -0.5, v[70:71]
	v_add_f64 v[72:73], v[6:7], v[39:40]
	s_delay_alu instid0(VALU_DEP_3) | instskip(SKIP_1) | instid1(VALU_DEP_4)
	v_add_f64 v[4:5], v[4:5], v[16:17]
	v_add_f64 v[16:17], v[16:17], -v[33:34]
	v_fma_f64 v[6:7], v[10:11], s[18:19], v[0:1]
	v_fma_f64 v[0:1], v[10:11], s[16:17], v[0:1]
	;; [unrolled: 1-line block ×4, first 2 shown]
	v_add_f64 v[70:71], v[4:5], v[33:34]
	v_add_f64 v[4:5], v[31:32], -v[39:40]
	v_add_f64 v[12:13], v[12:13], v[16:17]
	v_fma_f64 v[0:1], v[8:9], s[14:15], v[0:1]
	v_fma_f64 v[6:7], v[8:9], s[12:13], v[6:7]
	;; [unrolled: 1-line block ×4, first 2 shown]
	v_add_f64 v[14:15], v[44:45], -v[54:55]
	v_add_f64 v[16:17], v[48:49], -v[24:25]
	;; [unrolled: 1-line block ×3, first 2 shown]
	v_add_f64 v[4:5], v[18:19], v[4:5]
	v_fma_f64 v[109:110], v[12:13], s[20:21], v[0:1]
	v_add_f64 v[0:1], v[44:45], -v[48:49]
	v_fma_f64 v[105:106], v[12:13], s[20:21], v[6:7]
	v_add_f64 v[6:7], v[50:51], v[52:53]
	v_fma_f64 v[111:112], v[4:5], s[20:21], v[2:3]
	v_add_f64 v[2:3], v[54:55], -v[24:25]
	v_fma_f64 v[107:108], v[4:5], s[20:21], v[8:9]
	v_add_f64 v[4:5], v[56:57], -v[52:53]
	v_add_f64 v[8:9], v[46:47], -v[56:57]
	v_fma_f64 v[6:7], v[6:7], -0.5, v[68:69]
	v_add_f64 v[0:1], v[0:1], v[2:3]
	v_add_f64 v[2:3], v[46:47], -v[50:51]
	s_delay_alu instid0(VALU_DEP_3) | instskip(SKIP_1) | instid1(VALU_DEP_3)
	v_fma_f64 v[18:19], v[14:15], s[18:19], v[6:7]
	v_fma_f64 v[6:7], v[14:15], s[16:17], v[6:7]
	v_add_f64 v[2:3], v[2:3], v[4:5]
	v_add_f64 v[4:5], v[48:49], v[24:25]
	s_delay_alu instid0(VALU_DEP_4) | instskip(NEXT) | instid1(VALU_DEP_4)
	v_fma_f64 v[18:19], v[16:17], s[14:15], v[18:19]
	v_fma_f64 v[6:7], v[16:17], s[12:13], v[6:7]
	s_delay_alu instid0(VALU_DEP_3) | instskip(NEXT) | instid1(VALU_DEP_3)
	v_fma_f64 v[4:5], v[4:5], -0.5, v[66:67]
	v_fma_f64 v[115:116], v[2:3], s[20:21], v[18:19]
	s_delay_alu instid0(VALU_DEP_3)
	v_fma_f64 v[119:120], v[2:3], s[20:21], v[6:7]
	v_add_f64 v[6:7], v[68:69], v[46:47]
	v_add_f64 v[2:3], v[46:47], v[56:57]
	v_add_f64 v[18:19], v[50:51], -v[46:47]
	v_fma_f64 v[12:13], v[8:9], s[16:17], v[4:5]
	v_fma_f64 v[4:5], v[8:9], s[18:19], v[4:5]
	v_add_f64 v[6:7], v[6:7], v[50:51]
	v_fma_f64 v[2:3], v[2:3], -0.5, v[68:69]
	s_delay_alu instid0(VALU_DEP_4) | instskip(NEXT) | instid1(VALU_DEP_4)
	v_fma_f64 v[12:13], v[10:11], s[12:13], v[12:13]
	v_fma_f64 v[4:5], v[10:11], s[14:15], v[4:5]
	s_delay_alu instid0(VALU_DEP_4) | instskip(NEXT) | instid1(VALU_DEP_3)
	v_add_f64 v[6:7], v[6:7], v[52:53]
	v_fma_f64 v[113:114], v[0:1], s[20:21], v[12:13]
	s_delay_alu instid0(VALU_DEP_3) | instskip(SKIP_4) | instid1(VALU_DEP_4)
	v_fma_f64 v[117:118], v[0:1], s[20:21], v[4:5]
	v_add_f64 v[4:5], v[66:67], v[44:45]
	v_add_f64 v[0:1], v[44:45], v[54:55]
	v_add_f64 v[12:13], v[48:49], -v[44:45]
	v_add_f64 v[68:69], v[6:7], v[56:57]
	v_add_f64 v[4:5], v[4:5], v[48:49]
	s_delay_alu instid0(VALU_DEP_4) | instskip(NEXT) | instid1(VALU_DEP_4)
	v_fma_f64 v[0:1], v[0:1], -0.5, v[66:67]
	v_add_f64 v[12:13], v[12:13], v[20:21]
	s_delay_alu instid0(VALU_DEP_3) | instskip(NEXT) | instid1(VALU_DEP_3)
	v_add_f64 v[4:5], v[4:5], v[24:25]
	v_fma_f64 v[6:7], v[10:11], s[18:19], v[0:1]
	v_fma_f64 v[0:1], v[10:11], s[16:17], v[0:1]
	;; [unrolled: 1-line block ×4, first 2 shown]
	v_add_f64 v[66:67], v[4:5], v[54:55]
	v_add_f64 v[4:5], v[52:53], -v[56:57]
	v_fma_f64 v[0:1], v[8:9], s[14:15], v[0:1]
	v_fma_f64 v[6:7], v[8:9], s[12:13], v[6:7]
	;; [unrolled: 1-line block ×4, first 2 shown]
	v_add_f64 v[4:5], v[18:19], v[4:5]
	v_fma_f64 v[125:126], v[12:13], s[20:21], v[0:1]
	v_and_b32_e32 v0, 0xffff, v29
	v_fma_f64 v[121:122], v[12:13], s[20:21], v[6:7]
	s_delay_alu instid0(VALU_DEP_2) | instskip(NEXT) | instid1(VALU_DEP_1)
	v_mul_u32_u24_e32 v0, 0xe1, v0
	v_add_lshl_u32 v0, v0, v35, 4
	scratch_store_b32 off, v0, off offset:492 ; 4-byte Folded Spill
	s_waitcnt_vscnt null, 0x0
	s_barrier
	buffer_gl0_inv
	ds_store_b128 v0, v[62:65]
	ds_store_b128 v0, v[74:77] offset:720
	ds_store_b128 v0, v[89:92] offset:1440
	;; [unrolled: 1-line block ×4, first 2 shown]
	v_mad_u16 v0, 0xe1, v36, v37
	s_delay_alu instid0(VALU_DEP_1) | instskip(NEXT) | instid1(VALU_DEP_1)
	v_and_b32_e32 v0, 0xffff, v0
	v_lshlrev_b32_e32 v0, 4, v0
	scratch_store_b32 off, v0, off offset:488 ; 4-byte Folded Spill
	v_fma_f64 v[123:124], v[4:5], s[20:21], v[8:9]
	v_fma_f64 v[127:128], v[4:5], s[20:21], v[2:3]
	ds_store_b128 v0, v[70:73]
	ds_store_b128 v0, v[97:100] offset:720
	ds_store_b128 v0, v[105:108] offset:1440
	;; [unrolled: 1-line block ×4, first 2 shown]
	v_mad_u16 v0, 0xe1, v41, v87
	s_delay_alu instid0(VALU_DEP_1) | instskip(NEXT) | instid1(VALU_DEP_1)
	v_and_b32_e32 v0, 0xffff, v0
	v_lshlrev_b32_e32 v0, 4, v0
	scratch_store_b32 off, v0, off offset:436 ; 4-byte Folded Spill
	ds_store_b128 v0, v[66:69]
	ds_store_b128 v0, v[113:116] offset:720
	ds_store_b128 v0, v[121:124] offset:1440
	;; [unrolled: 1-line block ×4, first 2 shown]
	v_and_b32_e32 v119, 0xffff, v26
	s_waitcnt lgkmcnt(0)
	s_waitcnt_vscnt null, 0x0
	s_barrier
	buffer_gl0_inv
	v_lshlrev_b32_e32 v16, 5, v119
	s_clause 0x1
	global_load_b128 v[8:11], v16, s[10:11] offset:3552
	global_load_b128 v[4:7], v16, s[10:11] offset:3568
	ds_load_b128 v[62:65], v131 offset:10800
	ds_load_b128 v[76:79], v131 offset:8640
	s_waitcnt vmcnt(1) lgkmcnt(1)
	v_mul_f64 v[0:1], v[64:65], v[10:11]
	v_mul_f64 v[2:3], v[62:63], v[10:11]
	scratch_store_b128 off, v[8:11], off offset:372 ; 16-byte Folded Spill
	v_fma_f64 v[0:1], v[62:63], v[8:9], -v[0:1]
	v_fma_f64 v[2:3], v[64:65], v[8:9], v[2:3]
	ds_load_b128 v[62:65], v131 offset:21600
	ds_load_b128 v[80:83], v131 offset:23760
	s_waitcnt vmcnt(0)
	v_dual_mov_b32 v11, v7 :: v_dual_mov_b32 v10, v6
	v_dual_mov_b32 v9, v5 :: v_dual_mov_b32 v8, v4
	v_mul_u32_u24_e32 v37, 0x91a3, v61
	scratch_store_b128 off, v[8:11], off offset:356 ; 16-byte Folded Spill
	v_lshrrev_b32_e32 v37, 23, v37
	s_delay_alu instid0(VALU_DEP_1) | instskip(SKIP_3) | instid1(VALU_DEP_3)
	v_mul_lo_u16 v37, 0xe1, v37
	s_waitcnt lgkmcnt(1)
	v_mul_f64 v[4:5], v[64:65], v[10:11]
	v_mul_f64 v[6:7], v[62:63], v[10:11]
	v_sub_nc_u16 v37, v42, v37
	s_delay_alu instid0(VALU_DEP_1) | instskip(NEXT) | instid1(VALU_DEP_1)
	v_lshlrev_b16 v41, 5, v37
	v_and_b32_e32 v41, 0xffff, v41
	v_fma_f64 v[4:5], v[62:63], v[8:9], -v[4:5]
	v_fma_f64 v[6:7], v[64:65], v[8:9], v[6:7]
	v_add_co_u32 v8, s22, 0xffffffa6, v119
	s_delay_alu instid0(VALU_DEP_1) | instskip(NEXT) | instid1(VALU_DEP_1)
	v_add_co_ci_u32_e64 v9, null, 0, -1, s22
	v_dual_cndmask_b32 v24, v8, v30 :: v_dual_cndmask_b32 v25, v9, v88
	v_mul_u32_u24_e32 v27, 0x91a3, v60
	s_delay_alu instid0(VALU_DEP_2) | instskip(SKIP_1) | instid1(VALU_DEP_1)
	v_lshlrev_b64 v[8:9], 5, v[24:25]
	v_add_co_u32 v25, s22, s10, v16
	v_add_co_ci_u32_e64 v29, null, s11, 0, s22
	s_delay_alu instid0(VALU_DEP_4) | instskip(NEXT) | instid1(VALU_DEP_4)
	v_lshrrev_b32_e32 v35, 23, v27
	v_add_co_u32 v8, vcc_lo, s10, v8
	v_add_co_ci_u32_e32 v9, vcc_lo, s11, v9, vcc_lo
	v_add_co_u32 v16, vcc_lo, 0x1000, v25
	s_delay_alu instid0(VALU_DEP_4) | instskip(SKIP_4) | instid1(VALU_DEP_1)
	v_mul_lo_u16 v27, 0xe1, v35
	s_clause 0x1
	global_load_b128 v[17:20], v[8:9], off offset:3552
	global_load_b128 v[12:15], v[8:9], off offset:3568
	v_sub_nc_u16 v36, v43, v27
	v_lshlrev_b16 v27, 5, v36
	v_add_f64 v[52:53], v[0:1], v[4:5]
	v_add_f64 v[54:55], v[2:3], v[6:7]
	s_delay_alu instid0(VALU_DEP_3) | instskip(NEXT) | instid1(VALU_DEP_1)
	v_and_b32_e32 v27, 0xffff, v27
	v_add_co_u32 v27, s22, s10, v27
	s_delay_alu instid0(VALU_DEP_1) | instskip(SKIP_1) | instid1(VALU_DEP_1)
	v_add_co_ci_u32_e64 v28, null, s11, 0, s22
	v_add_co_u32 v44, s22, s10, v41
	v_add_co_ci_u32_e64 v45, null, s11, 0, s22
	s_waitcnt vmcnt(1)
	scratch_store_b128 off, v[17:20], off offset:388 ; 16-byte Folded Spill
	ds_load_b128 v[62:65], v131 offset:12960
	ds_load_b128 v[85:88], v131 offset:15120
	s_waitcnt lgkmcnt(1)
	v_mul_f64 v[8:9], v[64:65], v[19:20]
	v_mul_f64 v[10:11], v[62:63], v[19:20]
	s_delay_alu instid0(VALU_DEP_2) | instskip(NEXT) | instid1(VALU_DEP_2)
	v_fma_f64 v[8:9], v[62:63], v[17:18], -v[8:9]
	v_fma_f64 v[10:11], v[64:65], v[17:18], v[10:11]
	s_waitcnt vmcnt(0)
	v_dual_mov_b32 v20, v15 :: v_dual_mov_b32 v19, v14
	v_dual_mov_b32 v18, v13 :: v_dual_mov_b32 v17, v12
	s_delay_alu instid0(VALU_DEP_2)
	v_mul_f64 v[12:13], v[82:83], v[19:20]
	v_mul_f64 v[14:15], v[80:81], v[19:20]
	scratch_store_b128 off, v[17:20], off offset:404 ; 16-byte Folded Spill
	v_fma_f64 v[12:13], v[80:81], v[17:18], -v[12:13]
	v_fma_f64 v[14:15], v[82:83], v[17:18], v[14:15]
	v_add_co_ci_u32_e32 v17, vcc_lo, 0, v29, vcc_lo
	v_add_co_u32 v18, vcc_lo, 0x1380, v25
	v_add_co_ci_u32_e32 v19, vcc_lo, 0, v29, vcc_lo
	s_clause 0x1
	global_load_b128 v[120:123], v[16:17], off offset:896
	global_load_b128 v[31:34], v[18:19], off offset:16
	ds_load_b128 v[62:65], v131 offset:25920
	ds_load_b128 v[80:83], v131 offset:28080
	v_cmp_lt_u16_e32 vcc_lo, 0x59, v26
	v_cndmask_b32_e64 v26, 0, 0x2a3, vcc_lo
	s_delay_alu instid0(VALU_DEP_1)
	v_add_lshl_u32 v128, v24, v26, 4
	s_waitcnt vmcnt(1) lgkmcnt(2)
	v_mul_f64 v[16:17], v[87:88], v[122:123]
	s_waitcnt vmcnt(0)
	scratch_store_b128 off, v[31:34], off offset:420 ; 16-byte Folded Spill
	s_clause 0x1
	global_load_b128 v[113:116], v[27:28], off offset:3552
	global_load_b128 v[124:127], v[27:28], off offset:3568
	v_mul_f64 v[18:19], v[85:86], v[122:123]
	s_waitcnt lgkmcnt(1)
	v_mul_f64 v[20:21], v[64:65], v[33:34]
	v_mul_f64 v[22:23], v[62:63], v[33:34]
	v_fma_f64 v[16:17], v[85:86], v[120:121], -v[16:17]
	s_delay_alu instid0(VALU_DEP_4) | instskip(NEXT) | instid1(VALU_DEP_4)
	v_fma_f64 v[18:19], v[87:88], v[120:121], v[18:19]
	v_fma_f64 v[20:21], v[62:63], v[31:32], -v[20:21]
	s_delay_alu instid0(VALU_DEP_4)
	v_fma_f64 v[22:23], v[64:65], v[31:32], v[22:23]
	ds_load_b128 v[62:65], v131 offset:17280
	ds_load_b128 v[85:88], v131 offset:19440
	s_clause 0x1
	global_load_b128 v[105:108], v[44:45], off offset:3552
	global_load_b128 v[109:112], v[44:45], off offset:3568
	s_waitcnt vmcnt(3) lgkmcnt(1)
	v_mul_f64 v[27:28], v[64:65], v[115:116]
	v_mul_f64 v[31:32], v[62:63], v[115:116]
	s_waitcnt vmcnt(2)
	v_mul_f64 v[39:40], v[80:81], v[126:127]
	v_mul_f64 v[33:34], v[82:83], v[126:127]
	s_delay_alu instid0(VALU_DEP_4)
	v_fma_f64 v[27:28], v[62:63], v[113:114], -v[27:28]
	ds_load_b128 v[60:63], v131 offset:30240
	v_fma_f64 v[31:32], v[64:65], v[113:114], v[31:32]
	v_fma_f64 v[39:40], v[82:83], v[124:125], v[39:40]
	v_fma_f64 v[33:34], v[80:81], v[124:125], -v[33:34]
	s_waitcnt vmcnt(1) lgkmcnt(1)
	v_mul_f64 v[46:47], v[85:86], v[107:108]
	v_mul_f64 v[44:45], v[87:88], v[107:108]
	s_waitcnt vmcnt(0) lgkmcnt(0)
	v_mul_f64 v[48:49], v[62:63], v[111:112]
	v_mul_f64 v[50:51], v[60:61], v[111:112]
	s_delay_alu instid0(VALU_DEP_4) | instskip(NEXT) | instid1(VALU_DEP_4)
	v_fma_f64 v[46:47], v[87:88], v[105:106], v[46:47]
	v_fma_f64 v[44:45], v[85:86], v[105:106], -v[44:45]
	s_delay_alu instid0(VALU_DEP_4) | instskip(NEXT) | instid1(VALU_DEP_4)
	v_fma_f64 v[48:49], v[60:61], v[109:110], -v[48:49]
	v_fma_f64 v[50:51], v[62:63], v[109:110], v[50:51]
	ds_load_b128 v[60:63], v131
	ds_load_b128 v[64:67], v131 offset:2160
	ds_load_b128 v[97:100], v131 offset:4320
	;; [unrolled: 1-line block ×3, first 2 shown]
	s_waitcnt lgkmcnt(0)
	s_waitcnt_vscnt null, 0x0
	s_barrier
	buffer_gl0_inv
	v_fma_f64 v[54:55], v[54:55], -0.5, v[62:63]
	v_add_f64 v[58:59], v[60:61], v[0:1]
	v_add_f64 v[0:1], v[0:1], -v[4:5]
	v_fma_f64 v[52:53], v[52:53], -0.5, v[60:61]
	v_add_f64 v[56:57], v[62:63], v[2:3]
	v_add_f64 v[2:3], v[2:3], -v[6:7]
	v_add_f64 v[60:61], v[58:59], v[4:5]
	v_fma_f64 v[82:83], v[0:1], s[8:9], v[54:55]
	v_fma_f64 v[87:88], v[0:1], s[2:3], v[54:55]
	v_add_f64 v[0:1], v[8:9], v[12:13]
	v_fma_f64 v[80:81], v[2:3], s[2:3], v[52:53]
	v_fma_f64 v[85:86], v[2:3], s[8:9], v[52:53]
	v_add_f64 v[2:3], v[10:11], v[14:15]
	v_add_f64 v[4:5], v[66:67], v[10:11]
	v_add_f64 v[10:11], v[10:11], -v[14:15]
	v_add_f64 v[62:63], v[56:57], v[6:7]
	v_add_f64 v[6:7], v[64:65], v[8:9]
	ds_store_b128 v131, v[60:63]
	ds_store_b128 v131, v[80:83] offset:3600
	ds_store_b128 v131, v[85:88] offset:7200
	v_fma_f64 v[0:1], v[0:1], -0.5, v[64:65]
	v_fma_f64 v[2:3], v[2:3], -0.5, v[66:67]
	v_add_f64 v[66:67], v[4:5], v[14:15]
	v_add_f64 v[4:5], v[8:9], -v[12:13]
	v_add_f64 v[8:9], v[18:19], -v[22:23]
	v_add_f64 v[64:65], v[6:7], v[12:13]
	v_add_f64 v[6:7], v[97:98], v[16:17]
	v_fma_f64 v[89:90], v[10:11], s[2:3], v[0:1]
	v_fma_f64 v[93:94], v[10:11], s[8:9], v[0:1]
	v_add_f64 v[0:1], v[16:17], v[20:21]
	v_fma_f64 v[91:92], v[4:5], s[8:9], v[2:3]
	v_fma_f64 v[95:96], v[4:5], s[2:3], v[2:3]
	v_add_f64 v[2:3], v[18:19], v[22:23]
	v_add_f64 v[4:5], v[99:100], v[18:19]
	v_add_f64 v[10:11], v[16:17], -v[20:21]
	v_add_f64 v[18:19], v[31:32], -v[39:40]
	v_fma_f64 v[0:1], v[0:1], -0.5, v[97:98]
	v_add_f64 v[97:98], v[6:7], v[20:21]
	v_fma_f64 v[2:3], v[2:3], -0.5, v[99:100]
	v_add_f64 v[99:100], v[4:5], v[22:23]
	s_delay_alu instid0(VALU_DEP_4)
	v_fma_f64 v[4:5], v[8:9], s[2:3], v[0:1]
	v_fma_f64 v[12:13], v[8:9], s[8:9], v[0:1]
	v_add_f64 v[0:1], v[27:28], v[33:34]
	v_fma_f64 v[6:7], v[10:11], s[8:9], v[2:3]
	v_fma_f64 v[14:15], v[10:11], s[2:3], v[2:3]
	v_add_f64 v[2:3], v[31:32], v[39:40]
	v_add_f64 v[8:9], v[103:104], v[31:32]
	;; [unrolled: 1-line block ×3, first 2 shown]
	v_add_f64 v[31:32], v[44:45], -v[48:49]
	ds_store_b128 v128, v[64:67]
	ds_store_b128 v128, v[89:92] offset:3600
	ds_store_b128 v128, v[93:96] offset:7200
	;; [unrolled: 1-line block ×5, first 2 shown]
	v_mad_u16 v4, 0x2a3, v35, v36
	v_fma_f64 v[0:1], v[0:1], -0.5, v[101:102]
	v_fma_f64 v[2:3], v[2:3], -0.5, v[103:104]
	v_add_f64 v[103:104], v[8:9], v[39:40]
	v_add_f64 v[8:9], v[27:28], -v[33:34]
	v_add_f64 v[101:102], v[10:11], v[33:34]
	v_add_f64 v[27:28], v[46:47], -v[50:51]
	v_and_b32_e32 v4, 0xffff, v4
	s_delay_alu instid0(VALU_DEP_1) | instskip(SKIP_1) | instid1(VALU_DEP_1)
	v_lshlrev_b32_e32 v90, 4, v4
	v_and_b32_e32 v4, 0xffff, v37
	v_lshlrev_b32_e32 v89, 4, v4
	v_fma_f64 v[16:17], v[18:19], s[2:3], v[0:1]
	v_fma_f64 v[20:21], v[18:19], s[8:9], v[0:1]
	v_add_f64 v[0:1], v[44:45], v[48:49]
	v_fma_f64 v[18:19], v[8:9], s[8:9], v[2:3]
	v_fma_f64 v[22:23], v[8:9], s[2:3], v[2:3]
	v_add_f64 v[8:9], v[76:77], v[44:45]
	ds_store_b128 v90, v[101:104]
	ds_store_b128 v90, v[16:19] offset:3600
	ds_store_b128 v90, v[20:23] offset:7200
	v_fma_f64 v[2:3], v[0:1], -0.5, v[76:77]
	v_add_f64 v[0:1], v[46:47], v[50:51]
	v_add_f64 v[76:77], v[8:9], v[48:49]
	s_delay_alu instid0(VALU_DEP_3) | instskip(NEXT) | instid1(VALU_DEP_3)
	v_fma_f64 v[8:9], v[27:28], s[8:9], v[2:3]
	v_fma_f64 v[10:11], v[0:1], -0.5, v[78:79]
	v_add_f64 v[0:1], v[78:79], v[46:47]
	s_delay_alu instid0(VALU_DEP_1) | instskip(SKIP_1) | instid1(VALU_DEP_4)
	v_add_f64 v[78:79], v[0:1], v[50:51]
	v_fma_f64 v[0:1], v[27:28], s[2:3], v[2:3]
	v_fma_f64 v[2:3], v[31:32], s[8:9], v[10:11]
	;; [unrolled: 1-line block ×3, first 2 shown]
	ds_store_b128 v89, v[76:79] offset:21600
	ds_store_b128 v89, v[0:3] offset:25200
	;; [unrolled: 1-line block ×3, first 2 shown]
	v_add_co_u32 v0, vcc_lo, 0x2000, v25
	v_add_co_ci_u32_e32 v1, vcc_lo, 0, v29, vcc_lo
	v_add_co_u32 v2, vcc_lo, 0x2a00, v25
	v_add_co_ci_u32_e32 v3, vcc_lo, 0, v29, vcc_lo
	s_waitcnt lgkmcnt(0)
	s_barrier
	buffer_gl0_inv
	s_clause 0x1
	global_load_b128 v[16:19], v[0:1], off offset:2560
	global_load_b128 v[12:15], v[2:3], off offset:16
	ds_load_b128 v[0:3], v131 offset:10800
	ds_load_b128 v[4:7], v131 offset:8640
	s_waitcnt vmcnt(1) lgkmcnt(1)
	v_mul_f64 v[8:9], v[2:3], v[18:19]
	scratch_store_b128 off, v[16:19], off offset:276 ; 16-byte Folded Spill
	v_fma_f64 v[46:47], v[0:1], v[16:17], -v[8:9]
	v_mul_f64 v[0:1], v[0:1], v[18:19]
	s_delay_alu instid0(VALU_DEP_1)
	v_fma_f64 v[48:49], v[2:3], v[16:17], v[0:1]
	ds_load_b128 v[0:3], v131 offset:21600
	ds_load_b128 v[8:11], v131 offset:23760
	s_waitcnt vmcnt(0)
	v_mov_b32_e32 v17, v15
	v_dual_mov_b32 v16, v14 :: v_dual_mov_b32 v15, v13
	v_mov_b32_e32 v14, v12
	scratch_store_b128 off, v[14:17], off offset:260 ; 16-byte Folded Spill
	s_waitcnt lgkmcnt(1)
	v_mul_f64 v[12:13], v[2:3], v[16:17]
	s_delay_alu instid0(VALU_DEP_1) | instskip(SKIP_1) | instid1(VALU_DEP_1)
	v_fma_f64 v[20:21], v[0:1], v[14:15], -v[12:13]
	v_mul_f64 v[0:1], v[0:1], v[16:17]
	v_fma_f64 v[22:23], v[2:3], v[14:15], v[0:1]
	v_lshlrev_b32_e32 v0, 5, v30
	s_delay_alu instid0(VALU_DEP_1) | instskip(NEXT) | instid1(VALU_DEP_1)
	v_add_co_u32 v2, s22, s10, v0
	v_add_co_ci_u32_e64 v3, null, s11, 0, s22
	s_delay_alu instid0(VALU_DEP_2) | instskip(NEXT) | instid1(VALU_DEP_2)
	v_add_co_u32 v0, vcc_lo, 0x2000, v2
	v_add_co_ci_u32_e32 v1, vcc_lo, 0, v3, vcc_lo
	v_add_co_u32 v2, vcc_lo, 0x2a00, v2
	v_add_co_ci_u32_e32 v3, vcc_lo, 0, v3, vcc_lo
	s_clause 0x1
	global_load_b128 v[26:29], v[0:1], off offset:2560
	global_load_b128 v[16:19], v[2:3], off offset:16
	s_waitcnt vmcnt(1)
	scratch_store_b128 off, v[26:29], off offset:292 ; 16-byte Folded Spill
	ds_load_b128 v[0:3], v131 offset:12960
	ds_load_b128 v[12:15], v131 offset:15120
	s_waitcnt vmcnt(0)
	scratch_store_b128 off, v[16:19], off offset:308 ; 16-byte Folded Spill
	s_waitcnt lgkmcnt(1)
	v_mul_f64 v[24:25], v[2:3], v[28:29]
	s_delay_alu instid0(VALU_DEP_1) | instskip(SKIP_1) | instid1(VALU_DEP_1)
	v_fma_f64 v[24:25], v[0:1], v[26:27], -v[24:25]
	v_mul_f64 v[0:1], v[0:1], v[28:29]
	v_fma_f64 v[26:27], v[2:3], v[26:27], v[0:1]
	v_mul_f64 v[0:1], v[10:11], v[18:19]
	s_delay_alu instid0(VALU_DEP_1) | instskip(SKIP_1) | instid1(VALU_DEP_1)
	v_fma_f64 v[28:29], v[8:9], v[16:17], -v[0:1]
	v_mul_f64 v[0:1], v[8:9], v[18:19]
	v_fma_f64 v[30:31], v[10:11], v[16:17], v[0:1]
	v_lshlrev_b32_e32 v0, 5, v84
	s_delay_alu instid0(VALU_DEP_1) | instskip(NEXT) | instid1(VALU_DEP_1)
	v_add_co_u32 v2, s22, s10, v0
	v_add_co_ci_u32_e64 v3, null, s11, 0, s22
	s_delay_alu instid0(VALU_DEP_2) | instskip(NEXT) | instid1(VALU_DEP_2)
	v_add_co_u32 v0, vcc_lo, 0x2000, v2
	v_add_co_ci_u32_e32 v1, vcc_lo, 0, v3, vcc_lo
	v_add_co_u32 v2, vcc_lo, 0x2a00, v2
	v_add_co_ci_u32_e32 v3, vcc_lo, 0, v3, vcc_lo
	s_clause 0x1
	global_load_b128 v[8:11], v[0:1], off offset:2560
	global_load_b128 v[16:19], v[2:3], off offset:16
	s_waitcnt vmcnt(1) lgkmcnt(0)
	v_mul_f64 v[0:1], v[14:15], v[10:11]
	scratch_store_b128 off, v[8:11], off offset:340 ; 16-byte Folded Spill
	v_fma_f64 v[32:33], v[12:13], v[8:9], -v[0:1]
	v_mul_f64 v[0:1], v[12:13], v[10:11]
	s_delay_alu instid0(VALU_DEP_1)
	v_fma_f64 v[34:35], v[14:15], v[8:9], v[0:1]
	ds_load_b128 v[0:3], v131 offset:25920
	ds_load_b128 v[8:11], v131 offset:28080
	s_waitcnt vmcnt(0)
	scratch_store_b128 off, v[16:19], off offset:324 ; 16-byte Folded Spill
	s_waitcnt lgkmcnt(1)
	v_mul_f64 v[12:13], v[2:3], v[18:19]
	s_delay_alu instid0(VALU_DEP_1) | instskip(SKIP_1) | instid1(VALU_DEP_1)
	v_fma_f64 v[44:45], v[0:1], v[16:17], -v[12:13]
	v_mul_f64 v[0:1], v[0:1], v[18:19]
	v_fma_f64 v[63:64], v[2:3], v[16:17], v[0:1]
	v_lshlrev_b32_e32 v0, 5, v43
	s_delay_alu instid0(VALU_DEP_1) | instskip(NEXT) | instid1(VALU_DEP_1)
	v_add_co_u32 v2, s22, s10, v0
	v_add_co_ci_u32_e64 v3, null, s11, 0, s22
	s_delay_alu instid0(VALU_DEP_2) | instskip(NEXT) | instid1(VALU_DEP_2)
	v_add_co_u32 v0, vcc_lo, 0x2000, v2
	v_add_co_ci_u32_e32 v1, vcc_lo, 0, v3, vcc_lo
	v_add_co_u32 v2, vcc_lo, 0x2a00, v2
	v_add_co_ci_u32_e32 v3, vcc_lo, 0, v3, vcc_lo
	s_clause 0x1
	global_load_b128 v[96:99], v[0:1], off offset:2560
	global_load_b128 v[92:95], v[2:3], off offset:16
	ds_load_b128 v[0:3], v131 offset:17280
	ds_load_b128 v[12:15], v131 offset:19440
	s_waitcnt vmcnt(1) lgkmcnt(1)
	v_mul_f64 v[39:40], v[2:3], v[98:99]
	s_delay_alu instid0(VALU_DEP_1) | instskip(SKIP_1) | instid1(VALU_DEP_1)
	v_fma_f64 v[65:66], v[0:1], v[96:97], -v[39:40]
	v_mul_f64 v[0:1], v[0:1], v[98:99]
	v_fma_f64 v[67:68], v[2:3], v[96:97], v[0:1]
	s_waitcnt vmcnt(0)
	v_mul_f64 v[0:1], v[10:11], v[94:95]
	s_delay_alu instid0(VALU_DEP_1) | instskip(SKIP_1) | instid1(VALU_DEP_1)
	v_fma_f64 v[69:70], v[8:9], v[92:93], -v[0:1]
	v_mul_f64 v[0:1], v[8:9], v[94:95]
	v_fma_f64 v[71:72], v[10:11], v[92:93], v[0:1]
	v_lshlrev_b32_e32 v0, 5, v42
	s_delay_alu instid0(VALU_DEP_1) | instskip(NEXT) | instid1(VALU_DEP_1)
	v_add_co_u32 v2, s10, s10, v0
	v_add_co_ci_u32_e64 v3, null, s11, 0, s10
	s_delay_alu instid0(VALU_DEP_2) | instskip(NEXT) | instid1(VALU_DEP_2)
	v_add_co_u32 v0, vcc_lo, 0x2000, v2
	v_add_co_ci_u32_e32 v1, vcc_lo, 0, v3, vcc_lo
	v_add_co_u32 v2, vcc_lo, 0x2a00, v2
	v_add_co_ci_u32_e32 v3, vcc_lo, 0, v3, vcc_lo
	s_clause 0x1
	global_load_b128 v[85:88], v[0:1], off offset:2560
	global_load_b128 v[100:103], v[2:3], off offset:16
	s_waitcnt vmcnt(1) lgkmcnt(0)
	v_mul_f64 v[0:1], v[14:15], v[87:88]
	s_delay_alu instid0(VALU_DEP_1) | instskip(SKIP_2) | instid1(VALU_DEP_2)
	v_fma_f64 v[73:74], v[12:13], v[85:86], -v[0:1]
	v_mul_f64 v[0:1], v[12:13], v[87:88]
	v_add_f64 v[12:13], v[46:47], v[20:21]
	v_fma_f64 v[117:118], v[14:15], v[85:86], v[0:1]
	ds_load_b128 v[0:3], v131 offset:30240
	s_waitcnt vmcnt(0) lgkmcnt(0)
	v_mul_f64 v[8:9], v[2:3], v[102:103]
	s_delay_alu instid0(VALU_DEP_1) | instskip(SKIP_1) | instid1(VALU_DEP_1)
	v_fma_f64 v[16:17], v[0:1], v[100:101], -v[8:9]
	v_mul_f64 v[0:1], v[0:1], v[102:103]
	v_fma_f64 v[18:19], v[2:3], v[100:101], v[0:1]
	ds_load_b128 v[0:3], v131
	ds_load_b128 v[8:11], v131 offset:2160
	s_waitcnt lgkmcnt(1)
	v_fma_f64 v[39:40], v[12:13], -0.5, v[0:1]
	v_add_f64 v[12:13], v[48:49], v[22:23]
	v_add_f64 v[0:1], v[0:1], v[46:47]
	s_delay_alu instid0(VALU_DEP_2) | instskip(SKIP_1) | instid1(VALU_DEP_3)
	v_fma_f64 v[41:42], v[12:13], -0.5, v[2:3]
	v_add_f64 v[2:3], v[2:3], v[48:49]
	v_add_f64 v[12:13], v[0:1], v[20:21]
	v_add_f64 v[0:1], v[46:47], -v[20:21]
	v_add_f64 v[48:49], v[48:49], -v[22:23]
	;; [unrolled: 1-line block ×3, first 2 shown]
	v_add_f64 v[14:15], v[2:3], v[22:23]
	v_add_f64 v[2:3], v[26:27], v[30:31]
	v_fma_f64 v[61:62], v[0:1], s[8:9], v[41:42]
	v_fma_f64 v[57:58], v[0:1], s[2:3], v[41:42]
	v_add_f64 v[0:1], v[24:25], v[28:29]
	v_add_f64 v[22:23], v[24:25], -v[28:29]
	v_fma_f64 v[59:60], v[48:49], s[2:3], v[39:40]
	v_fma_f64 v[55:56], v[48:49], s[8:9], v[39:40]
	s_waitcnt lgkmcnt(0)
	v_fma_f64 v[2:3], v[2:3], -0.5, v[10:11]
	v_add_f64 v[10:11], v[10:11], v[26:27]
	v_add_f64 v[26:27], v[32:33], -v[44:45]
	v_fma_f64 v[0:1], v[0:1], -0.5, v[8:9]
	v_add_f64 v[8:9], v[8:9], v[24:25]
	v_add_f64 v[24:25], v[34:35], -v[63:64]
	v_fma_f64 v[53:54], v[22:23], s[8:9], v[2:3]
	v_fma_f64 v[49:50], v[22:23], s[2:3], v[2:3]
	v_add_f64 v[22:23], v[34:35], v[63:64]
	v_fma_f64 v[51:52], v[20:21], s[2:3], v[0:1]
	v_fma_f64 v[47:48], v[20:21], s[8:9], v[0:1]
	v_add_f64 v[20:21], v[32:33], v[44:45]
	ds_load_b128 v[0:3], v131 offset:4320
	ds_load_b128 v[39:42], v131 offset:6480
	v_add_f64 v[10:11], v[10:11], v[30:31]
	v_add_f64 v[30:31], v[67:68], -v[71:72]
	v_add_f64 v[8:9], v[8:9], v[28:29]
	s_waitcnt lgkmcnt(1)
	v_fma_f64 v[22:23], v[22:23], -0.5, v[2:3]
	v_add_f64 v[2:3], v[2:3], v[34:35]
	v_fma_f64 v[20:21], v[20:21], -0.5, v[0:1]
	v_add_f64 v[0:1], v[0:1], v[32:33]
	s_delay_alu instid0(VALU_DEP_4) | instskip(NEXT) | instid1(VALU_DEP_4)
	v_fma_f64 v[34:35], v[26:27], s[8:9], v[22:23]
	v_add_f64 v[2:3], v[2:3], v[63:64]
	v_add_f64 v[63:64], v[117:118], -v[18:19]
	v_fma_f64 v[32:33], v[24:25], s[2:3], v[20:21]
	v_add_f64 v[0:1], v[0:1], v[44:45]
	v_fma_f64 v[43:44], v[24:25], s[8:9], v[20:21]
	v_fma_f64 v[45:46], v[26:27], s[2:3], v[22:23]
	v_add_f64 v[20:21], v[65:66], v[69:70]
	v_add_f64 v[22:23], v[67:68], v[71:72]
	s_waitcnt lgkmcnt(0)
	v_add_f64 v[26:27], v[39:40], v[65:66]
	v_add_f64 v[24:25], v[41:42], v[67:68]
	s_delay_alu instid0(VALU_DEP_4) | instskip(NEXT) | instid1(VALU_DEP_4)
	v_fma_f64 v[20:21], v[20:21], -0.5, v[39:40]
	v_fma_f64 v[22:23], v[22:23], -0.5, v[41:42]
	s_delay_alu instid0(VALU_DEP_4)
	v_add_f64 v[39:40], v[26:27], v[69:70]
	v_add_f64 v[26:27], v[65:66], -v[69:70]
	v_add_f64 v[41:42], v[24:25], v[71:72]
	v_add_f64 v[65:66], v[73:74], -v[16:17]
	v_fma_f64 v[28:29], v[30:31], s[2:3], v[20:21]
	v_fma_f64 v[24:25], v[30:31], s[8:9], v[20:21]
	v_add_f64 v[20:21], v[73:74], v[16:17]
	v_fma_f64 v[30:31], v[26:27], s[8:9], v[22:23]
	v_fma_f64 v[26:27], v[26:27], s[2:3], v[22:23]
	v_add_f64 v[22:23], v[117:118], v[18:19]
	s_delay_alu instid0(VALU_DEP_4) | instskip(SKIP_1) | instid1(VALU_DEP_3)
	v_fma_f64 v[20:21], v[20:21], -0.5, v[4:5]
	v_add_f64 v[4:5], v[4:5], v[73:74]
	v_fma_f64 v[22:23], v[22:23], -0.5, v[6:7]
	v_add_f64 v[6:7], v[6:7], v[117:118]
	s_delay_alu instid0(VALU_DEP_3) | instskip(SKIP_2) | instid1(VALU_DEP_4)
	v_add_f64 v[4:5], v[4:5], v[16:17]
	v_fma_f64 v[16:17], v[63:64], s[2:3], v[20:21]
	v_fma_f64 v[20:21], v[63:64], s[8:9], v[20:21]
	v_add_f64 v[6:7], v[6:7], v[18:19]
	v_fma_f64 v[18:19], v[65:66], s[8:9], v[22:23]
	v_fma_f64 v[22:23], v[65:66], s[2:3], v[22:23]
	ds_store_b128 v131, v[12:15]
	ds_store_b128 v131, v[8:11] offset:2160
	ds_store_b128 v131, v[0:3] offset:4320
	;; [unrolled: 1-line block ×14, first 2 shown]
	s_waitcnt lgkmcnt(0)
	s_waitcnt_vscnt null, 0x0
	s_barrier
	buffer_gl0_inv
	scratch_load_b64 v[0:1], off, off offset:248 ; 8-byte Folded Reload
	v_add_co_u32 v4, vcc_lo, 0x7e90, v130
	v_add_co_ci_u32_e32 v5, vcc_lo, 0, v129, vcc_lo
	s_waitcnt vmcnt(0)
	s_clause 0x1
	global_load_b128 v[0:3], v[0:1], off offset:3728
	global_load_b128 v[4:7], v[4:5], off offset:2160
	ds_load_b128 v[8:11], v131
	ds_load_b128 v[12:15], v131 offset:2160
	s_waitcnt vmcnt(1) lgkmcnt(1)
	v_mul_f64 v[16:17], v[10:11], v[2:3]
	v_mul_f64 v[2:3], v[8:9], v[2:3]
	s_delay_alu instid0(VALU_DEP_2) | instskip(SKIP_2) | instid1(VALU_DEP_4)
	v_fma_f64 v[71:72], v[8:9], v[0:1], -v[16:17]
	v_add_co_u32 v8, vcc_lo, 0xa000, v130
	v_add_co_ci_u32_e32 v9, vcc_lo, 0, v129, vcc_lo
	v_fma_f64 v[73:74], v[10:11], v[0:1], v[2:3]
	s_clause 0x1
	global_load_b128 v[0:3], v[8:9], off offset:2240
	global_load_b128 v[16:19], v[8:9], off offset:80
	ds_load_b128 v[20:23], v131 offset:10800
	ds_load_b128 v[24:27], v131 offset:8640
	s_waitcnt vmcnt(1) lgkmcnt(1)
	v_mul_f64 v[8:9], v[22:23], v[2:3]
	v_mul_f64 v[2:3], v[20:21], v[2:3]
	s_delay_alu instid0(VALU_DEP_2) | instskip(SKIP_2) | instid1(VALU_DEP_4)
	v_fma_f64 v[67:68], v[20:21], v[0:1], -v[8:9]
	v_add_co_u32 v8, vcc_lo, 0xd000, v130
	v_add_co_ci_u32_e32 v9, vcc_lo, 0, v129, vcc_lo
	v_fma_f64 v[69:70], v[22:23], v[0:1], v[2:3]
	s_clause 0x1
	global_load_b128 v[0:3], v[8:9], off offset:752
	global_load_b128 v[28:31], v[8:9], off offset:2912
	ds_load_b128 v[32:35], v131 offset:21600
	ds_load_b128 v[39:42], v131 offset:23760
	s_waitcnt vmcnt(1) lgkmcnt(1)
	v_mul_f64 v[8:9], v[34:35], v[2:3]
	v_mul_f64 v[2:3], v[32:33], v[2:3]
	s_delay_alu instid0(VALU_DEP_2) | instskip(NEXT) | instid1(VALU_DEP_2)
	v_fma_f64 v[63:64], v[32:33], v[0:1], -v[8:9]
	v_fma_f64 v[65:66], v[34:35], v[0:1], v[2:3]
	v_mul_f64 v[0:1], v[14:15], v[6:7]
	v_mul_f64 v[2:3], v[12:13], v[6:7]
	s_delay_alu instid0(VALU_DEP_2) | instskip(SKIP_2) | instid1(VALU_DEP_4)
	v_fma_f64 v[32:33], v[12:13], v[4:5], -v[0:1]
	v_add_co_u32 v0, vcc_lo, 0xb000, v130
	v_add_co_ci_u32_e32 v1, vcc_lo, 0, v129, vcc_lo
	v_fma_f64 v[34:35], v[14:15], v[4:5], v[2:3]
	s_clause 0x1
	global_load_b128 v[4:7], v[0:1], off offset:304
	global_load_b128 v[12:15], v[0:1], off offset:2464
	ds_load_b128 v[43:46], v131 offset:12960
	ds_load_b128 v[47:50], v131 offset:15120
	s_waitcnt vmcnt(1) lgkmcnt(1)
	v_mul_f64 v[0:1], v[45:46], v[6:7]
	v_mul_f64 v[2:3], v[43:44], v[6:7]
	s_delay_alu instid0(VALU_DEP_2) | instskip(SKIP_1) | instid1(VALU_DEP_3)
	v_fma_f64 v[43:44], v[43:44], v[4:5], -v[0:1]
	v_mul_f64 v[0:1], v[41:42], v[30:31]
	v_fma_f64 v[45:46], v[45:46], v[4:5], v[2:3]
	v_mul_f64 v[2:3], v[39:40], v[30:31]
	s_delay_alu instid0(VALU_DEP_3) | instskip(SKIP_2) | instid1(VALU_DEP_4)
	v_fma_f64 v[20:21], v[39:40], v[28:29], -v[0:1]
	v_add_co_u32 v0, vcc_lo, 0x8000, v130
	v_add_co_ci_u32_e32 v1, vcc_lo, 0, v129, vcc_lo
	v_fma_f64 v[22:23], v[41:42], v[28:29], v[2:3]
	v_add_co_u32 v2, vcc_lo, 0xe000, v130
	v_add_co_ci_u32_e32 v3, vcc_lo, 0, v129, vcc_lo
	s_clause 0x1
	global_load_b128 v[28:31], v[0:1], off offset:3952
	global_load_b128 v[39:42], v[2:3], off offset:976
	ds_load_b128 v[51:54], v131 offset:4320
	ds_load_b128 v[55:58], v131 offset:6480
	s_waitcnt vmcnt(1) lgkmcnt(1)
	v_mul_f64 v[0:1], v[53:54], v[30:31]
	v_mul_f64 v[4:5], v[51:52], v[30:31]
	s_delay_alu instid0(VALU_DEP_2) | instskip(NEXT) | instid1(VALU_DEP_2)
	v_fma_f64 v[51:52], v[51:52], v[28:29], -v[0:1]
	v_fma_f64 v[53:54], v[53:54], v[28:29], v[4:5]
	v_mul_f64 v[0:1], v[49:50], v[14:15]
	v_mul_f64 v[4:5], v[47:48], v[14:15]
	s_delay_alu instid0(VALU_DEP_2) | instskip(NEXT) | instid1(VALU_DEP_2)
	v_fma_f64 v[28:29], v[47:48], v[12:13], -v[0:1]
	v_fma_f64 v[30:31], v[49:50], v[12:13], v[4:5]
	ds_load_b128 v[12:15], v131 offset:25920
	ds_load_b128 v[47:50], v131 offset:28080
	s_waitcnt vmcnt(0) lgkmcnt(1)
	v_mul_f64 v[0:1], v[14:15], v[41:42]
	v_mul_f64 v[4:5], v[12:13], v[41:42]
	s_delay_alu instid0(VALU_DEP_2) | instskip(SKIP_2) | instid1(VALU_DEP_4)
	v_fma_f64 v[12:13], v[12:13], v[39:40], -v[0:1]
	v_add_co_u32 v0, vcc_lo, 0x9000, v130
	v_add_co_ci_u32_e32 v1, vcc_lo, 0, v129, vcc_lo
	v_fma_f64 v[14:15], v[14:15], v[39:40], v[4:5]
	s_clause 0x1
	global_load_b128 v[39:42], v[0:1], off offset:2016
	global_load_b128 v[59:62], v[2:3], off offset:3136
	s_waitcnt vmcnt(1)
	v_mul_f64 v[0:1], v[57:58], v[41:42]
	v_mul_f64 v[2:3], v[55:56], v[41:42]
	s_delay_alu instid0(VALU_DEP_2) | instskip(SKIP_2) | instid1(VALU_DEP_4)
	v_fma_f64 v[55:56], v[55:56], v[39:40], -v[0:1]
	v_add_co_u32 v0, vcc_lo, 0xc000, v130
	v_add_co_ci_u32_e32 v1, vcc_lo, 0, v129, vcc_lo
	v_fma_f64 v[57:58], v[57:58], v[39:40], v[2:3]
	s_clause 0x1
	global_load_b128 v[39:42], v[0:1], off offset:528
	global_load_b128 v[8:11], v[0:1], off offset:2688
	ds_load_b128 v[0:3], v131 offset:17280
	ds_load_b128 v[4:7], v131 offset:19440
	s_waitcnt vmcnt(1) lgkmcnt(1)
	v_mul_f64 v[117:118], v[2:3], v[41:42]
	v_mul_f64 v[41:42], v[0:1], v[41:42]
	s_delay_alu instid0(VALU_DEP_2) | instskip(NEXT) | instid1(VALU_DEP_2)
	v_fma_f64 v[0:1], v[0:1], v[39:40], -v[117:118]
	v_fma_f64 v[2:3], v[2:3], v[39:40], v[41:42]
	v_mul_f64 v[39:40], v[49:50], v[61:62]
	v_mul_f64 v[41:42], v[47:48], v[61:62]
	s_delay_alu instid0(VALU_DEP_2) | instskip(SKIP_2) | instid1(VALU_DEP_4)
	v_fma_f64 v[39:40], v[47:48], v[59:60], -v[39:40]
	v_mul_f64 v[47:48], v[26:27], v[18:19]
	v_mul_f64 v[18:19], v[24:25], v[18:19]
	v_fma_f64 v[41:42], v[49:50], v[59:60], v[41:42]
	s_delay_alu instid0(VALU_DEP_3) | instskip(NEXT) | instid1(VALU_DEP_3)
	v_fma_f64 v[24:25], v[24:25], v[16:17], -v[47:48]
	v_fma_f64 v[26:27], v[26:27], v[16:17], v[18:19]
	s_waitcnt vmcnt(0) lgkmcnt(0)
	v_mul_f64 v[16:17], v[6:7], v[10:11]
	v_mul_f64 v[10:11], v[4:5], v[10:11]
	s_delay_alu instid0(VALU_DEP_2) | instskip(NEXT) | instid1(VALU_DEP_2)
	v_fma_f64 v[4:5], v[4:5], v[8:9], -v[16:17]
	v_fma_f64 v[6:7], v[6:7], v[8:9], v[10:11]
	v_add_co_u32 v8, vcc_lo, 0xf000, v130
	v_add_co_ci_u32_e32 v9, vcc_lo, 0, v129, vcc_lo
	ds_load_b128 v[16:19], v131 offset:30240
	global_load_b128 v[8:11], v[8:9], off offset:1200
	s_waitcnt vmcnt(0) lgkmcnt(0)
	v_mul_f64 v[47:48], v[18:19], v[10:11]
	v_mul_f64 v[10:11], v[16:17], v[10:11]
	s_delay_alu instid0(VALU_DEP_2) | instskip(NEXT) | instid1(VALU_DEP_2)
	v_fma_f64 v[16:17], v[16:17], v[8:9], -v[47:48]
	v_fma_f64 v[18:19], v[18:19], v[8:9], v[10:11]
	ds_store_b128 v131, v[71:74]
	ds_store_b128 v131, v[32:35] offset:2160
	ds_store_b128 v131, v[63:66] offset:21600
	;; [unrolled: 1-line block ×14, first 2 shown]
	s_waitcnt lgkmcnt(0)
	s_barrier
	buffer_gl0_inv
	ds_load_b128 v[0:3], v131 offset:10800
	ds_load_b128 v[4:7], v131
	ds_load_b128 v[8:11], v131 offset:2160
	ds_load_b128 v[12:15], v131 offset:8640
	;; [unrolled: 1-line block ×4, first 2 shown]
	s_waitcnt lgkmcnt(4)
	v_add_f64 v[24:25], v[4:5], v[0:1]
	v_add_f64 v[26:27], v[6:7], v[2:3]
	s_waitcnt lgkmcnt(1)
	v_add_f64 v[59:60], v[0:1], v[16:17]
	v_add_f64 v[49:50], v[2:3], -v[18:19]
	v_add_f64 v[55:56], v[2:3], v[18:19]
	v_add_f64 v[53:54], v[0:1], -v[16:17]
	v_add_f64 v[0:1], v[24:25], v[16:17]
	v_add_f64 v[2:3], v[26:27], v[18:19]
	ds_load_b128 v[16:19], v131 offset:12960
	ds_load_b128 v[24:27], v131 offset:15120
	s_waitcnt lgkmcnt(1)
	v_add_f64 v[28:29], v[8:9], v[16:17]
	v_add_f64 v[30:31], v[10:11], v[18:19]
	;; [unrolled: 1-line block ×3, first 2 shown]
	v_add_f64 v[57:58], v[18:19], -v[22:23]
	v_add_f64 v[63:64], v[18:19], v[22:23]
	v_add_f64 v[61:62], v[16:17], -v[20:21]
	v_add_f64 v[16:17], v[28:29], v[20:21]
	v_add_f64 v[18:19], v[30:31], v[22:23]
	ds_load_b128 v[20:23], v131 offset:4320
	ds_load_b128 v[28:31], v131 offset:6480
	;; [unrolled: 1-line block ×4, first 2 shown]
	s_waitcnt lgkmcnt(3)
	v_add_f64 v[43:44], v[20:21], v[24:25]
	v_add_f64 v[45:46], v[22:23], v[26:27]
	s_waitcnt lgkmcnt(1)
	v_add_f64 v[77:78], v[24:25], v[32:33]
	v_add_f64 v[65:66], v[26:27], -v[34:35]
	v_add_f64 v[75:76], v[26:27], v[34:35]
	v_add_f64 v[69:70], v[24:25], -v[32:33]
	v_add_f64 v[24:25], v[43:44], v[32:33]
	v_add_f64 v[26:27], v[45:46], v[34:35]
	ds_load_b128 v[32:35], v131 offset:17280
	ds_load_b128 v[43:46], v131 offset:19440
	s_waitcnt lgkmcnt(1)
	v_add_f64 v[71:72], v[28:29], v[32:33]
	v_add_f64 v[73:74], v[30:31], v[34:35]
	;; [unrolled: 1-line block ×3, first 2 shown]
	v_add_f64 v[129:130], v[34:35], -v[41:42]
	v_add_f64 v[83:84], v[34:35], v[41:42]
	v_add_f64 v[51:52], v[32:33], -v[39:40]
	v_add_f64 v[32:33], v[71:72], v[39:40]
	v_add_f64 v[34:35], v[73:74], v[41:42]
	ds_load_b128 v[39:42], v131 offset:30240
	s_waitcnt lgkmcnt(1)
	v_add_f64 v[71:72], v[12:13], v[43:44]
	s_waitcnt lgkmcnt(0)
	s_barrier
	buffer_gl0_inv
	v_add_f64 v[73:74], v[14:15], v[45:46]
	v_add_f64 v[81:82], v[43:44], v[39:40]
	v_add_f64 v[36:37], v[43:44], -v[39:40]
	v_fma_f64 v[43:44], v[59:60], -0.5, v[4:5]
	v_add_f64 v[47:48], v[45:46], -v[41:42]
	v_add_f64 v[79:80], v[45:46], v[41:42]
	v_fma_f64 v[45:46], v[55:56], -0.5, v[6:7]
	v_add_f64 v[39:40], v[71:72], v[39:40]
	v_add_f64 v[41:42], v[73:74], v[41:42]
	v_fma_f64 v[4:5], v[49:50], s[8:9], v[43:44]
	v_fma_f64 v[43:44], v[49:50], s[2:3], v[43:44]
	scratch_load_b32 v49, off, off offset:256 ; 4-byte Folded Reload
	v_fma_f64 v[6:7], v[53:54], s[2:3], v[45:46]
	v_fma_f64 v[45:46], v[53:54], s[8:9], v[45:46]
	s_waitcnt vmcnt(0)
	ds_store_b128 v49, v[0:3]
	ds_store_b128 v49, v[4:7] offset:16
	ds_store_b128 v49, v[43:46] offset:32
	v_fma_f64 v[2:3], v[67:68], -0.5, v[8:9]
	scratch_load_b32 v8, off, off offset:536 ; 4-byte Folded Reload
	v_fma_f64 v[6:7], v[63:64], -0.5, v[10:11]
	v_fma_f64 v[0:1], v[57:58], s[8:9], v[2:3]
	v_fma_f64 v[4:5], v[57:58], s[2:3], v[2:3]
	s_delay_alu instid0(VALU_DEP_3)
	v_fma_f64 v[2:3], v[61:62], s[2:3], v[6:7]
	v_fma_f64 v[6:7], v[61:62], s[8:9], v[6:7]
	s_waitcnt vmcnt(0)
	ds_store_b128 v8, v[16:19]
	ds_store_b128 v8, v[0:3] offset:16
	ds_store_b128 v8, v[4:7] offset:32
	scratch_load_b32 v8, off, off offset:532 ; 4-byte Folded Reload
	v_fma_f64 v[2:3], v[77:78], -0.5, v[20:21]
	v_fma_f64 v[6:7], v[75:76], -0.5, v[22:23]
	s_delay_alu instid0(VALU_DEP_2) | instskip(SKIP_1) | instid1(VALU_DEP_3)
	v_fma_f64 v[0:1], v[65:66], s[8:9], v[2:3]
	v_fma_f64 v[4:5], v[65:66], s[2:3], v[2:3]
	v_fma_f64 v[2:3], v[69:70], s[2:3], v[6:7]
	v_fma_f64 v[6:7], v[69:70], s[8:9], v[6:7]
	s_waitcnt vmcnt(0)
	ds_store_b128 v8, v[24:27]
	ds_store_b128 v8, v[0:3] offset:16
	ds_store_b128 v8, v[4:7] offset:32
	scratch_load_b32 v8, off, off offset:528 ; 4-byte Folded Reload
	v_fma_f64 v[2:3], v[117:118], -0.5, v[28:29]
	v_fma_f64 v[6:7], v[83:84], -0.5, v[30:31]
	s_delay_alu instid0(VALU_DEP_2) | instskip(SKIP_1) | instid1(VALU_DEP_3)
	v_fma_f64 v[0:1], v[129:130], s[8:9], v[2:3]
	v_fma_f64 v[4:5], v[129:130], s[2:3], v[2:3]
	;; [unrolled: 12-line block ×3, first 2 shown]
	v_fma_f64 v[2:3], v[36:37], s[2:3], v[6:7]
	v_fma_f64 v[6:7], v[36:37], s[8:9], v[6:7]
	s_waitcnt vmcnt(0)
	ds_store_b128 v8, v[39:42]
	ds_store_b128 v8, v[0:3] offset:16
	ds_store_b128 v8, v[4:7] offset:32
	s_waitcnt lgkmcnt(0)
	s_barrier
	buffer_gl0_inv
	ds_load_b128 v[0:3], v131 offset:10800
	ds_load_b128 v[4:7], v131 offset:8640
	s_waitcnt lgkmcnt(1)
	v_mul_f64 v[8:9], v[242:243], v[2:3]
	s_delay_alu instid0(VALU_DEP_1) | instskip(SKIP_1) | instid1(VALU_DEP_1)
	v_fma_f64 v[16:17], v[240:241], v[0:1], v[8:9]
	v_mul_f64 v[0:1], v[242:243], v[0:1]
	v_fma_f64 v[18:19], v[240:241], v[2:3], -v[0:1]
	ds_load_b128 v[0:3], v131 offset:21600
	ds_load_b128 v[8:11], v131 offset:23760
	s_waitcnt lgkmcnt(1)
	v_mul_f64 v[12:13], v[238:239], v[2:3]
	s_delay_alu instid0(VALU_DEP_1) | instskip(SKIP_1) | instid1(VALU_DEP_1)
	v_fma_f64 v[20:21], v[236:237], v[0:1], v[12:13]
	v_mul_f64 v[0:1], v[238:239], v[0:1]
	v_fma_f64 v[22:23], v[236:237], v[2:3], -v[0:1]
	;; [unrolled: 8-line block ×3, first 2 shown]
	v_mul_f64 v[0:1], v[246:247], v[10:11]
	s_delay_alu instid0(VALU_DEP_1) | instskip(SKIP_1) | instid1(VALU_DEP_1)
	v_fma_f64 v[32:33], v[244:245], v[8:9], v[0:1]
	v_mul_f64 v[0:1], v[246:247], v[8:9]
	v_fma_f64 v[34:35], v[244:245], v[10:11], -v[0:1]
	s_waitcnt lgkmcnt(0)
	v_mul_f64 v[0:1], v[150:151], v[14:15]
	s_delay_alu instid0(VALU_DEP_1) | instskip(SKIP_1) | instid1(VALU_DEP_1)
	v_fma_f64 v[36:37], v[148:149], v[12:13], v[0:1]
	v_mul_f64 v[0:1], v[150:151], v[12:13]
	v_fma_f64 v[39:40], v[148:149], v[14:15], -v[0:1]
	ds_load_b128 v[0:3], v131 offset:25920
	ds_load_b128 v[8:11], v131 offset:28080
	s_waitcnt lgkmcnt(1)
	v_mul_f64 v[12:13], v[254:255], v[2:3]
	s_delay_alu instid0(VALU_DEP_1) | instskip(SKIP_1) | instid1(VALU_DEP_1)
	v_fma_f64 v[41:42], v[252:253], v[0:1], v[12:13]
	v_mul_f64 v[0:1], v[254:255], v[0:1]
	v_fma_f64 v[43:44], v[252:253], v[2:3], -v[0:1]
	ds_load_b128 v[0:3], v131 offset:17280
	ds_load_b128 v[12:15], v131 offset:19440
	s_waitcnt lgkmcnt(1)
	v_mul_f64 v[24:25], v[142:143], v[2:3]
	s_delay_alu instid0(VALU_DEP_1) | instskip(SKIP_1) | instid1(VALU_DEP_1)
	v_fma_f64 v[45:46], v[140:141], v[0:1], v[24:25]
	v_mul_f64 v[0:1], v[142:143], v[0:1]
	v_fma_f64 v[47:48], v[140:141], v[2:3], -v[0:1]
	v_mul_f64 v[0:1], v[146:147], v[10:11]
	s_delay_alu instid0(VALU_DEP_1) | instskip(SKIP_1) | instid1(VALU_DEP_1)
	v_fma_f64 v[49:50], v[144:145], v[8:9], v[0:1]
	v_mul_f64 v[0:1], v[146:147], v[8:9]
	v_fma_f64 v[51:52], v[144:145], v[10:11], -v[0:1]
	s_waitcnt lgkmcnt(0)
	v_mul_f64 v[0:1], v[134:135], v[14:15]
	s_delay_alu instid0(VALU_DEP_1) | instskip(SKIP_2) | instid1(VALU_DEP_2)
	v_fma_f64 v[53:54], v[132:133], v[12:13], v[0:1]
	v_mul_f64 v[0:1], v[134:135], v[12:13]
	v_add_f64 v[12:13], v[16:17], v[20:21]
	v_fma_f64 v[55:56], v[132:133], v[14:15], -v[0:1]
	ds_load_b128 v[0:3], v131 offset:30240
	s_waitcnt lgkmcnt(0)
	v_mul_f64 v[8:9], v[138:139], v[2:3]
	s_delay_alu instid0(VALU_DEP_1) | instskip(SKIP_1) | instid1(VALU_DEP_1)
	v_fma_f64 v[57:58], v[136:137], v[0:1], v[8:9]
	v_mul_f64 v[0:1], v[138:139], v[0:1]
	v_fma_f64 v[59:60], v[136:137], v[2:3], -v[0:1]
	ds_load_b128 v[0:3], v131
	ds_load_b128 v[8:11], v131 offset:2160
	s_waitcnt lgkmcnt(1)
	v_fma_f64 v[14:15], v[12:13], -0.5, v[0:1]
	v_add_f64 v[12:13], v[18:19], v[22:23]
	v_add_f64 v[0:1], v[0:1], v[16:17]
	s_delay_alu instid0(VALU_DEP_2) | instskip(SKIP_2) | instid1(VALU_DEP_4)
	v_fma_f64 v[24:25], v[12:13], -0.5, v[2:3]
	v_add_f64 v[2:3], v[2:3], v[18:19]
	v_add_f64 v[18:19], v[18:19], -v[22:23]
	v_add_f64 v[0:1], v[0:1], v[20:21]
	v_add_f64 v[20:21], v[16:17], -v[20:21]
	s_delay_alu instid0(VALU_DEP_4) | instskip(NEXT) | instid1(VALU_DEP_4)
	v_add_f64 v[2:3], v[2:3], v[22:23]
	v_fma_f64 v[12:13], v[18:19], s[8:9], v[14:15]
	v_fma_f64 v[16:17], v[18:19], s[2:3], v[14:15]
	s_delay_alu instid0(VALU_DEP_4)
	v_fma_f64 v[14:15], v[20:21], s[2:3], v[24:25]
	v_fma_f64 v[18:19], v[20:21], s[8:9], v[24:25]
	ds_load_b128 v[20:23], v131 offset:4320
	ds_load_b128 v[24:27], v131 offset:6480
	s_waitcnt lgkmcnt(0)
	s_barrier
	buffer_gl0_inv
	scratch_load_b32 v61, off, off offset:520 ; 4-byte Folded Reload
	s_waitcnt vmcnt(0)
	ds_store_b128 v61, v[0:3]
	ds_store_b128 v61, v[12:15] offset:48
	ds_store_b128 v61, v[16:19] offset:96
	v_add_f64 v[0:1], v[28:29], v[32:33]
	v_add_f64 v[16:17], v[28:29], -v[32:33]
	s_delay_alu instid0(VALU_DEP_2) | instskip(SKIP_2) | instid1(VALU_DEP_2)
	v_fma_f64 v[12:13], v[0:1], -0.5, v[8:9]
	v_add_f64 v[0:1], v[30:31], v[34:35]
	v_add_f64 v[8:9], v[8:9], v[28:29]
	v_fma_f64 v[14:15], v[0:1], -0.5, v[10:11]
	v_add_f64 v[0:1], v[10:11], v[30:31]
	v_add_f64 v[10:11], v[30:31], -v[34:35]
	s_delay_alu instid0(VALU_DEP_2) | instskip(SKIP_1) | instid1(VALU_DEP_3)
	v_add_f64 v[2:3], v[0:1], v[34:35]
	v_add_f64 v[0:1], v[8:9], v[32:33]
	v_fma_f64 v[8:9], v[10:11], s[8:9], v[12:13]
	v_fma_f64 v[12:13], v[10:11], s[2:3], v[12:13]
	;; [unrolled: 1-line block ×4, first 2 shown]
	scratch_load_b32 v16, off, off offset:516 ; 4-byte Folded Reload
	s_waitcnt vmcnt(0)
	ds_store_b128 v16, v[0:3]
	ds_store_b128 v16, v[8:11] offset:48
	ds_store_b128 v16, v[12:15] offset:96
	v_add_f64 v[0:1], v[36:37], v[41:42]
	v_add_f64 v[8:9], v[20:21], v[36:37]
	v_add_f64 v[12:13], v[39:40], -v[43:44]
	v_add_f64 v[16:17], v[36:37], -v[41:42]
	s_delay_alu instid0(VALU_DEP_4) | instskip(SKIP_1) | instid1(VALU_DEP_1)
	v_fma_f64 v[10:11], v[0:1], -0.5, v[20:21]
	v_add_f64 v[0:1], v[39:40], v[43:44]
	v_fma_f64 v[14:15], v[0:1], -0.5, v[22:23]
	v_add_f64 v[0:1], v[22:23], v[39:40]
	s_delay_alu instid0(VALU_DEP_1)
	v_add_f64 v[2:3], v[0:1], v[43:44]
	v_add_f64 v[0:1], v[8:9], v[41:42]
	v_fma_f64 v[8:9], v[12:13], s[8:9], v[10:11]
	v_fma_f64 v[12:13], v[12:13], s[2:3], v[10:11]
	;; [unrolled: 1-line block ×4, first 2 shown]
	scratch_load_b32 v16, off, off offset:512 ; 4-byte Folded Reload
	s_waitcnt vmcnt(0)
	ds_store_b128 v16, v[0:3]
	ds_store_b128 v16, v[8:11] offset:48
	ds_store_b128 v16, v[12:15] offset:96
	v_add_f64 v[0:1], v[45:46], v[49:50]
	v_add_f64 v[8:9], v[24:25], v[45:46]
	v_add_f64 v[12:13], v[47:48], -v[51:52]
	v_add_f64 v[16:17], v[45:46], -v[49:50]
	s_delay_alu instid0(VALU_DEP_4) | instskip(SKIP_1) | instid1(VALU_DEP_1)
	v_fma_f64 v[10:11], v[0:1], -0.5, v[24:25]
	v_add_f64 v[0:1], v[47:48], v[51:52]
	v_fma_f64 v[14:15], v[0:1], -0.5, v[26:27]
	v_add_f64 v[0:1], v[26:27], v[47:48]
	s_delay_alu instid0(VALU_DEP_1)
	v_add_f64 v[2:3], v[0:1], v[51:52]
	v_add_f64 v[0:1], v[8:9], v[49:50]
	v_fma_f64 v[8:9], v[12:13], s[8:9], v[10:11]
	v_fma_f64 v[12:13], v[12:13], s[2:3], v[10:11]
	;; [unrolled: 1-line block ×4, first 2 shown]
	scratch_load_b32 v16, off, off offset:508 ; 4-byte Folded Reload
	s_waitcnt vmcnt(0)
	ds_store_b128 v16, v[0:3]
	ds_store_b128 v16, v[8:11] offset:48
	ds_store_b128 v16, v[12:15] offset:96
	v_add_f64 v[0:1], v[53:54], v[57:58]
	v_add_f64 v[12:13], v[53:54], -v[57:58]
	s_delay_alu instid0(VALU_DEP_2) | instskip(SKIP_2) | instid1(VALU_DEP_2)
	v_fma_f64 v[8:9], v[0:1], -0.5, v[4:5]
	v_add_f64 v[0:1], v[55:56], v[59:60]
	v_add_f64 v[4:5], v[4:5], v[53:54]
	v_fma_f64 v[10:11], v[0:1], -0.5, v[6:7]
	v_add_f64 v[0:1], v[6:7], v[55:56]
	v_add_f64 v[6:7], v[55:56], -v[59:60]
	s_delay_alu instid0(VALU_DEP_2) | instskip(SKIP_1) | instid1(VALU_DEP_3)
	v_add_f64 v[2:3], v[0:1], v[59:60]
	v_add_f64 v[0:1], v[4:5], v[57:58]
	v_fma_f64 v[4:5], v[6:7], s[8:9], v[8:9]
	v_fma_f64 v[8:9], v[6:7], s[2:3], v[8:9]
	;; [unrolled: 1-line block ×4, first 2 shown]
	scratch_load_b32 v12, off, off offset:504 ; 4-byte Folded Reload
	s_waitcnt vmcnt(0)
	ds_store_b128 v12, v[0:3]
	ds_store_b128 v12, v[4:7] offset:48
	ds_store_b128 v12, v[8:11] offset:96
	s_waitcnt lgkmcnt(0)
	s_barrier
	buffer_gl0_inv
	ds_load_b128 v[0:3], v131 offset:6480
	ds_load_b128 v[4:7], v131 offset:4320
	s_waitcnt lgkmcnt(1)
	v_mul_f64 v[8:9], v[198:199], v[2:3]
	s_delay_alu instid0(VALU_DEP_1) | instskip(SKIP_1) | instid1(VALU_DEP_1)
	v_fma_f64 v[24:25], v[196:197], v[0:1], v[8:9]
	v_mul_f64 v[0:1], v[198:199], v[0:1]
	v_fma_f64 v[26:27], v[196:197], v[2:3], -v[0:1]
	ds_load_b128 v[0:3], v131 offset:12960
	ds_load_b128 v[8:11], v131 offset:15120
	s_waitcnt lgkmcnt(1)
	v_mul_f64 v[12:13], v[190:191], v[2:3]
	s_delay_alu instid0(VALU_DEP_1) | instskip(SKIP_1) | instid1(VALU_DEP_1)
	v_fma_f64 v[28:29], v[188:189], v[0:1], v[12:13]
	v_mul_f64 v[0:1], v[190:191], v[0:1]
	v_fma_f64 v[30:31], v[188:189], v[2:3], -v[0:1]
	ds_load_b128 v[0:3], v131 offset:19440
	ds_load_b128 v[12:15], v131 offset:17280
	s_waitcnt lgkmcnt(1)
	v_mul_f64 v[16:17], v[202:203], v[2:3]
	s_delay_alu instid0(VALU_DEP_1) | instskip(SKIP_1) | instid1(VALU_DEP_2)
	v_fma_f64 v[32:33], v[200:201], v[0:1], v[16:17]
	v_mul_f64 v[0:1], v[202:203], v[0:1]
	v_add_f64 v[77:78], v[28:29], -v[32:33]
	s_delay_alu instid0(VALU_DEP_2)
	v_fma_f64 v[34:35], v[200:201], v[2:3], -v[0:1]
	ds_load_b128 v[0:3], v131 offset:25920
	ds_load_b128 v[16:19], v131 offset:28080
	s_waitcnt lgkmcnt(1)
	v_mul_f64 v[20:21], v[194:195], v[2:3]
	v_add_f64 v[73:74], v[30:31], -v[34:35]
	s_delay_alu instid0(VALU_DEP_2) | instskip(SKIP_1) | instid1(VALU_DEP_2)
	v_fma_f64 v[36:37], v[192:193], v[0:1], v[20:21]
	v_mul_f64 v[0:1], v[194:195], v[0:1]
	v_add_f64 v[79:80], v[24:25], -v[36:37]
	s_delay_alu instid0(VALU_DEP_2)
	v_fma_f64 v[39:40], v[192:193], v[2:3], -v[0:1]
	ds_load_b128 v[0:3], v131 offset:8640
	ds_load_b128 v[20:23], v131 offset:10800
	s_waitcnt lgkmcnt(1)
	v_mul_f64 v[41:42], v[214:215], v[2:3]
	v_add_f64 v[75:76], v[26:27], -v[39:40]
	s_delay_alu instid0(VALU_DEP_2) | instskip(SKIP_1) | instid1(VALU_DEP_1)
	v_fma_f64 v[41:42], v[212:213], v[0:1], v[41:42]
	v_mul_f64 v[0:1], v[214:215], v[0:1]
	v_fma_f64 v[43:44], v[212:213], v[2:3], -v[0:1]
	v_mul_f64 v[0:1], v[206:207], v[10:11]
	s_delay_alu instid0(VALU_DEP_1) | instskip(SKIP_1) | instid1(VALU_DEP_1)
	v_fma_f64 v[45:46], v[204:205], v[8:9], v[0:1]
	v_mul_f64 v[0:1], v[206:207], v[8:9]
	v_fma_f64 v[47:48], v[204:205], v[10:11], -v[0:1]
	ds_load_b128 v[0:3], v131 offset:21600
	ds_load_b128 v[8:11], v131 offset:23760
	s_waitcnt lgkmcnt(1)
	v_mul_f64 v[49:50], v[218:219], v[2:3]
	s_delay_alu instid0(VALU_DEP_1) | instskip(SKIP_1) | instid1(VALU_DEP_1)
	v_fma_f64 v[49:50], v[216:217], v[0:1], v[49:50]
	v_mul_f64 v[0:1], v[218:219], v[0:1]
	v_fma_f64 v[51:52], v[216:217], v[2:3], -v[0:1]
	v_mul_f64 v[0:1], v[210:211], v[18:19]
	s_delay_alu instid0(VALU_DEP_1) | instskip(SKIP_1) | instid1(VALU_DEP_1)
	v_fma_f64 v[53:54], v[208:209], v[16:17], v[0:1]
	v_mul_f64 v[0:1], v[210:211], v[16:17]
	v_fma_f64 v[55:56], v[208:209], v[18:19], -v[0:1]
	;; [unrolled: 5-line block ×3, first 2 shown]
	v_mul_f64 v[0:1], v[222:223], v[14:15]
	s_delay_alu instid0(VALU_DEP_1) | instskip(SKIP_2) | instid1(VALU_DEP_2)
	v_fma_f64 v[61:62], v[220:221], v[12:13], v[0:1]
	v_mul_f64 v[0:1], v[222:223], v[12:13]
	v_add_f64 v[12:13], v[24:25], v[36:37]
	v_fma_f64 v[63:64], v[220:221], v[14:15], -v[0:1]
	s_waitcnt lgkmcnt(0)
	v_mul_f64 v[0:1], v[234:235], v[10:11]
	s_delay_alu instid0(VALU_DEP_1) | instskip(SKIP_1) | instid1(VALU_DEP_1)
	v_fma_f64 v[65:66], v[232:233], v[8:9], v[0:1]
	v_mul_f64 v[0:1], v[234:235], v[8:9]
	v_fma_f64 v[67:68], v[232:233], v[10:11], -v[0:1]
	ds_load_b128 v[0:3], v131 offset:30240
	s_waitcnt lgkmcnt(0)
	v_mul_f64 v[8:9], v[226:227], v[2:3]
	s_delay_alu instid0(VALU_DEP_1) | instskip(SKIP_1) | instid1(VALU_DEP_1)
	v_fma_f64 v[69:70], v[224:225], v[0:1], v[8:9]
	v_mul_f64 v[0:1], v[226:227], v[0:1]
	v_fma_f64 v[71:72], v[224:225], v[2:3], -v[0:1]
	v_add_f64 v[0:1], v[28:29], -v[24:25]
	v_add_f64 v[2:3], v[32:33], -v[36:37]
	s_delay_alu instid0(VALU_DEP_1) | instskip(SKIP_2) | instid1(VALU_DEP_1)
	v_add_f64 v[16:17], v[0:1], v[2:3]
	v_add_f64 v[0:1], v[30:31], -v[26:27]
	v_add_f64 v[2:3], v[34:35], -v[39:40]
	v_add_f64 v[18:19], v[0:1], v[2:3]
	ds_load_b128 v[0:3], v131
	ds_load_b128 v[8:11], v131 offset:2160
	s_waitcnt lgkmcnt(0)
	s_barrier
	buffer_gl0_inv
	v_fma_f64 v[20:21], v[12:13], -0.5, v[0:1]
	v_add_f64 v[12:13], v[26:27], v[39:40]
	s_delay_alu instid0(VALU_DEP_1) | instskip(NEXT) | instid1(VALU_DEP_3)
	v_fma_f64 v[22:23], v[12:13], -0.5, v[2:3]
	v_fma_f64 v[12:13], v[73:74], s[16:17], v[20:21]
	v_fma_f64 v[20:21], v[73:74], s[18:19], v[20:21]
	s_delay_alu instid0(VALU_DEP_3) | instskip(SKIP_1) | instid1(VALU_DEP_4)
	v_fma_f64 v[14:15], v[77:78], s[18:19], v[22:23]
	v_fma_f64 v[22:23], v[77:78], s[16:17], v[22:23]
	;; [unrolled: 1-line block ×3, first 2 shown]
	s_delay_alu instid0(VALU_DEP_4) | instskip(NEXT) | instid1(VALU_DEP_4)
	v_fma_f64 v[20:21], v[75:76], s[12:13], v[20:21]
	v_fma_f64 v[14:15], v[79:80], s[12:13], v[14:15]
	s_delay_alu instid0(VALU_DEP_4) | instskip(NEXT) | instid1(VALU_DEP_4)
	v_fma_f64 v[22:23], v[79:80], s[14:15], v[22:23]
	v_fma_f64 v[12:13], v[16:17], s[20:21], v[12:13]
	s_delay_alu instid0(VALU_DEP_4) | instskip(SKIP_4) | instid1(VALU_DEP_4)
	v_fma_f64 v[16:17], v[16:17], s[20:21], v[20:21]
	v_add_f64 v[20:21], v[28:29], v[32:33]
	v_fma_f64 v[14:15], v[18:19], s[20:21], v[14:15]
	v_fma_f64 v[18:19], v[18:19], s[20:21], v[22:23]
	v_add_f64 v[22:23], v[30:31], v[34:35]
	v_fma_f64 v[20:21], v[20:21], -0.5, v[0:1]
	v_add_f64 v[0:1], v[0:1], v[24:25]
	v_add_f64 v[24:25], v[24:25], -v[28:29]
	s_delay_alu instid0(VALU_DEP_4) | instskip(SKIP_4) | instid1(VALU_DEP_4)
	v_fma_f64 v[22:23], v[22:23], -0.5, v[2:3]
	v_add_f64 v[2:3], v[2:3], v[26:27]
	v_add_f64 v[26:27], v[26:27], -v[30:31]
	v_add_f64 v[0:1], v[0:1], v[28:29]
	v_add_f64 v[28:29], v[36:37], -v[32:33]
	;; [unrolled: 2-line block ×3, first 2 shown]
	s_delay_alu instid0(VALU_DEP_4)
	v_add_f64 v[0:1], v[0:1], v[32:33]
	v_fma_f64 v[32:33], v[75:76], s[18:19], v[20:21]
	v_fma_f64 v[20:21], v[75:76], s[16:17], v[20:21]
	v_add_f64 v[24:25], v[24:25], v[28:29]
	v_add_f64 v[2:3], v[2:3], v[34:35]
	v_fma_f64 v[34:35], v[79:80], s[16:17], v[22:23]
	v_fma_f64 v[22:23], v[79:80], s[18:19], v[22:23]
	v_add_f64 v[26:27], v[26:27], v[30:31]
	v_fma_f64 v[28:29], v[73:74], s[14:15], v[32:33]
	v_fma_f64 v[30:31], v[73:74], s[12:13], v[20:21]
	v_add_f64 v[0:1], v[0:1], v[36:37]
	v_add_f64 v[2:3], v[2:3], v[39:40]
	v_fma_f64 v[32:33], v[77:78], s[12:13], v[34:35]
	v_fma_f64 v[34:35], v[77:78], s[14:15], v[22:23]
	;; [unrolled: 1-line block ×4, first 2 shown]
	v_add_f64 v[28:29], v[41:42], -v[45:46]
	v_add_f64 v[30:31], v[43:44], -v[47:48]
	v_fma_f64 v[22:23], v[26:27], s[20:21], v[32:33]
	v_fma_f64 v[26:27], v[26:27], s[20:21], v[34:35]
	ds_store_b128 v38, v[0:3]
	ds_store_b128 v38, v[20:23] offset:144
	ds_store_b128 v38, v[12:15] offset:288
	;; [unrolled: 1-line block ×4, first 2 shown]
	v_add_f64 v[0:1], v[45:46], -v[41:42]
	v_add_f64 v[2:3], v[49:50], -v[53:54]
	;; [unrolled: 1-line block ×8, first 2 shown]
	v_add_f64 v[12:13], v[0:1], v[2:3]
	v_add_f64 v[0:1], v[47:48], -v[43:44]
	v_add_f64 v[2:3], v[51:52], -v[55:56]
	s_delay_alu instid0(VALU_DEP_1) | instskip(SKIP_1) | instid1(VALU_DEP_1)
	v_add_f64 v[14:15], v[0:1], v[2:3]
	v_add_f64 v[0:1], v[41:42], v[53:54]
	v_fma_f64 v[16:17], v[0:1], -0.5, v[8:9]
	v_add_f64 v[0:1], v[43:44], v[55:56]
	s_delay_alu instid0(VALU_DEP_1) | instskip(NEXT) | instid1(VALU_DEP_3)
	v_fma_f64 v[18:19], v[0:1], -0.5, v[10:11]
	v_fma_f64 v[0:1], v[20:21], s[16:17], v[16:17]
	v_fma_f64 v[16:17], v[20:21], s[18:19], v[16:17]
	s_delay_alu instid0(VALU_DEP_3) | instskip(SKIP_1) | instid1(VALU_DEP_4)
	v_fma_f64 v[2:3], v[24:25], s[18:19], v[18:19]
	v_fma_f64 v[18:19], v[24:25], s[16:17], v[18:19]
	;; [unrolled: 1-line block ×3, first 2 shown]
	s_delay_alu instid0(VALU_DEP_4) | instskip(NEXT) | instid1(VALU_DEP_4)
	v_fma_f64 v[16:17], v[22:23], s[12:13], v[16:17]
	v_fma_f64 v[2:3], v[26:27], s[12:13], v[2:3]
	s_delay_alu instid0(VALU_DEP_4) | instskip(NEXT) | instid1(VALU_DEP_4)
	v_fma_f64 v[18:19], v[26:27], s[14:15], v[18:19]
	v_fma_f64 v[0:1], v[12:13], s[20:21], v[0:1]
	s_delay_alu instid0(VALU_DEP_4) | instskip(SKIP_4) | instid1(VALU_DEP_4)
	v_fma_f64 v[12:13], v[12:13], s[20:21], v[16:17]
	v_add_f64 v[16:17], v[45:46], v[49:50]
	v_fma_f64 v[2:3], v[14:15], s[20:21], v[2:3]
	v_fma_f64 v[14:15], v[14:15], s[20:21], v[18:19]
	v_add_f64 v[18:19], v[47:48], v[51:52]
	v_fma_f64 v[16:17], v[16:17], -0.5, v[8:9]
	v_add_f64 v[8:9], v[8:9], v[41:42]
	s_delay_alu instid0(VALU_DEP_3) | instskip(SKIP_1) | instid1(VALU_DEP_4)
	v_fma_f64 v[18:19], v[18:19], -0.5, v[10:11]
	v_add_f64 v[10:11], v[10:11], v[43:44]
	v_fma_f64 v[36:37], v[22:23], s[18:19], v[16:17]
	v_fma_f64 v[16:17], v[22:23], s[16:17], v[16:17]
	v_add_f64 v[8:9], v[8:9], v[45:46]
	v_fma_f64 v[22:23], v[26:27], s[16:17], v[18:19]
	v_fma_f64 v[18:19], v[26:27], s[18:19], v[18:19]
	v_add_f64 v[26:27], v[28:29], v[32:33]
	v_add_f64 v[28:29], v[30:31], v[34:35]
	;; [unrolled: 1-line block ×4, first 2 shown]
	v_fma_f64 v[30:31], v[20:21], s[14:15], v[36:37]
	v_fma_f64 v[20:21], v[20:21], s[12:13], v[16:17]
	;; [unrolled: 1-line block ×4, first 2 shown]
	v_add_f64 v[10:11], v[10:11], v[51:52]
	v_add_f64 v[8:9], v[8:9], v[53:54]
	v_fma_f64 v[16:17], v[26:27], s[20:21], v[30:31]
	v_fma_f64 v[20:21], v[26:27], s[20:21], v[20:21]
	v_add_f64 v[26:27], v[59:60], -v[63:64]
	v_add_f64 v[30:31], v[71:72], -v[67:68]
	v_fma_f64 v[18:19], v[28:29], s[20:21], v[22:23]
	v_fma_f64 v[22:23], v[28:29], s[20:21], v[24:25]
	scratch_load_b32 v24, off, off offset:500 ; 4-byte Folded Reload
	v_add_f64 v[28:29], v[69:70], -v[65:66]
	v_add_f64 v[10:11], v[10:11], v[55:56]
	s_waitcnt vmcnt(0)
	ds_store_b128 v24, v[8:11]
	ds_store_b128 v24, v[16:19] offset:144
	ds_store_b128 v24, v[0:3] offset:288
	;; [unrolled: 1-line block ×4, first 2 shown]
	v_add_f64 v[0:1], v[61:62], -v[57:58]
	v_add_f64 v[2:3], v[65:66], -v[69:70]
	v_add_f64 v[16:17], v[63:64], -v[67:68]
	v_add_f64 v[20:21], v[61:62], -v[65:66]
	v_add_f64 v[18:19], v[59:60], -v[71:72]
	v_add_f64 v[22:23], v[57:58], -v[69:70]
	v_add_f64 v[24:25], v[57:58], -v[61:62]
	v_add_f64 v[8:9], v[0:1], v[2:3]
	v_add_f64 v[0:1], v[63:64], -v[59:60]
	v_add_f64 v[2:3], v[67:68], -v[71:72]
	s_delay_alu instid0(VALU_DEP_1) | instskip(SKIP_1) | instid1(VALU_DEP_1)
	v_add_f64 v[10:11], v[0:1], v[2:3]
	v_add_f64 v[0:1], v[57:58], v[69:70]
	v_fma_f64 v[12:13], v[0:1], -0.5, v[4:5]
	v_add_f64 v[0:1], v[59:60], v[71:72]
	s_delay_alu instid0(VALU_DEP_1) | instskip(NEXT) | instid1(VALU_DEP_3)
	v_fma_f64 v[14:15], v[0:1], -0.5, v[6:7]
	v_fma_f64 v[0:1], v[16:17], s[16:17], v[12:13]
	v_fma_f64 v[12:13], v[16:17], s[18:19], v[12:13]
	s_delay_alu instid0(VALU_DEP_3) | instskip(SKIP_1) | instid1(VALU_DEP_4)
	v_fma_f64 v[2:3], v[20:21], s[18:19], v[14:15]
	v_fma_f64 v[14:15], v[20:21], s[16:17], v[14:15]
	;; [unrolled: 1-line block ×3, first 2 shown]
	s_delay_alu instid0(VALU_DEP_4) | instskip(NEXT) | instid1(VALU_DEP_4)
	v_fma_f64 v[12:13], v[18:19], s[12:13], v[12:13]
	v_fma_f64 v[2:3], v[22:23], s[12:13], v[2:3]
	s_delay_alu instid0(VALU_DEP_4) | instskip(NEXT) | instid1(VALU_DEP_4)
	v_fma_f64 v[14:15], v[22:23], s[14:15], v[14:15]
	v_fma_f64 v[0:1], v[8:9], s[20:21], v[0:1]
	s_delay_alu instid0(VALU_DEP_4) | instskip(SKIP_4) | instid1(VALU_DEP_4)
	v_fma_f64 v[8:9], v[8:9], s[20:21], v[12:13]
	v_add_f64 v[12:13], v[61:62], v[65:66]
	v_fma_f64 v[2:3], v[10:11], s[20:21], v[2:3]
	v_fma_f64 v[10:11], v[10:11], s[20:21], v[14:15]
	v_add_f64 v[14:15], v[63:64], v[67:68]
	v_fma_f64 v[12:13], v[12:13], -0.5, v[4:5]
	v_add_f64 v[4:5], v[4:5], v[57:58]
	s_delay_alu instid0(VALU_DEP_3) | instskip(SKIP_1) | instid1(VALU_DEP_4)
	v_fma_f64 v[14:15], v[14:15], -0.5, v[6:7]
	v_add_f64 v[6:7], v[6:7], v[59:60]
	v_fma_f64 v[32:33], v[18:19], s[18:19], v[12:13]
	v_fma_f64 v[12:13], v[18:19], s[16:17], v[12:13]
	v_add_f64 v[4:5], v[4:5], v[61:62]
	v_fma_f64 v[18:19], v[22:23], s[16:17], v[14:15]
	v_fma_f64 v[14:15], v[22:23], s[18:19], v[14:15]
	v_add_f64 v[22:23], v[24:25], v[28:29]
	v_add_f64 v[24:25], v[26:27], v[30:31]
	;; [unrolled: 1-line block ×4, first 2 shown]
	v_fma_f64 v[26:27], v[16:17], s[14:15], v[32:33]
	v_fma_f64 v[16:17], v[16:17], s[12:13], v[12:13]
	;; [unrolled: 1-line block ×4, first 2 shown]
	v_add_f64 v[6:7], v[6:7], v[67:68]
	v_add_f64 v[4:5], v[4:5], v[69:70]
	v_fma_f64 v[12:13], v[22:23], s[20:21], v[26:27]
	v_fma_f64 v[16:17], v[22:23], s[20:21], v[16:17]
	;; [unrolled: 1-line block ×4, first 2 shown]
	scratch_load_b32 v20, off, off offset:496 ; 4-byte Folded Reload
	v_add_f64 v[6:7], v[6:7], v[71:72]
	s_waitcnt vmcnt(0)
	ds_store_b128 v20, v[4:7]
	ds_store_b128 v20, v[12:15] offset:144
	ds_store_b128 v20, v[0:3] offset:288
	;; [unrolled: 1-line block ×4, first 2 shown]
	s_waitcnt lgkmcnt(0)
	s_barrier
	buffer_gl0_inv
	ds_load_b128 v[0:3], v131 offset:6480
	ds_load_b128 v[4:7], v131 offset:4320
	scratch_load_b128 v[10:13], off, off offset:456 ; 16-byte Folded Reload
	s_waitcnt vmcnt(0) lgkmcnt(1)
	v_mul_f64 v[8:9], v[12:13], v[2:3]
	s_delay_alu instid0(VALU_DEP_1) | instskip(SKIP_1) | instid1(VALU_DEP_1)
	v_fma_f64 v[24:25], v[10:11], v[0:1], v[8:9]
	v_mul_f64 v[0:1], v[12:13], v[0:1]
	v_fma_f64 v[26:27], v[10:11], v[2:3], -v[0:1]
	ds_load_b128 v[0:3], v131 offset:12960
	ds_load_b128 v[8:11], v131 offset:15120
	scratch_load_b128 v[14:17], off, off offset:440 ; 16-byte Folded Reload
	s_waitcnt vmcnt(0) lgkmcnt(1)
	v_mul_f64 v[12:13], v[16:17], v[2:3]
	s_delay_alu instid0(VALU_DEP_1) | instskip(SKIP_1) | instid1(VALU_DEP_1)
	v_fma_f64 v[28:29], v[14:15], v[0:1], v[12:13]
	v_mul_f64 v[0:1], v[16:17], v[0:1]
	v_fma_f64 v[30:31], v[14:15], v[2:3], -v[0:1]
	ds_load_b128 v[0:3], v131 offset:19440
	ds_load_b128 v[12:15], v131 offset:17280
	s_waitcnt lgkmcnt(1)
	v_mul_f64 v[16:17], v[154:155], v[2:3]
	s_delay_alu instid0(VALU_DEP_1) | instskip(SKIP_1) | instid1(VALU_DEP_2)
	v_fma_f64 v[32:33], v[152:153], v[0:1], v[16:17]
	v_mul_f64 v[0:1], v[154:155], v[0:1]
	v_add_f64 v[76:77], v[28:29], -v[32:33]
	s_delay_alu instid0(VALU_DEP_2)
	v_fma_f64 v[34:35], v[152:153], v[2:3], -v[0:1]
	ds_load_b128 v[0:3], v131 offset:25920
	ds_load_b128 v[16:19], v131 offset:28080
	scratch_load_b128 v[38:41], off, off offset:472 ; 16-byte Folded Reload
	v_add_f64 v[72:73], v[30:31], -v[34:35]
	s_waitcnt vmcnt(0) lgkmcnt(1)
	v_mul_f64 v[20:21], v[40:41], v[2:3]
	s_delay_alu instid0(VALU_DEP_1) | instskip(SKIP_1) | instid1(VALU_DEP_2)
	v_fma_f64 v[36:37], v[38:39], v[0:1], v[20:21]
	v_mul_f64 v[0:1], v[40:41], v[0:1]
	v_add_f64 v[78:79], v[24:25], -v[36:37]
	s_delay_alu instid0(VALU_DEP_2)
	v_fma_f64 v[38:39], v[38:39], v[2:3], -v[0:1]
	ds_load_b128 v[0:3], v131 offset:8640
	ds_load_b128 v[20:23], v131 offset:10800
	s_waitcnt lgkmcnt(1)
	v_mul_f64 v[40:41], v[166:167], v[2:3]
	v_add_f64 v[74:75], v[26:27], -v[38:39]
	s_delay_alu instid0(VALU_DEP_2) | instskip(SKIP_1) | instid1(VALU_DEP_1)
	v_fma_f64 v[40:41], v[164:165], v[0:1], v[40:41]
	v_mul_f64 v[0:1], v[166:167], v[0:1]
	v_fma_f64 v[42:43], v[164:165], v[2:3], -v[0:1]
	v_mul_f64 v[0:1], v[158:159], v[10:11]
	s_delay_alu instid0(VALU_DEP_1) | instskip(SKIP_1) | instid1(VALU_DEP_1)
	v_fma_f64 v[44:45], v[156:157], v[8:9], v[0:1]
	v_mul_f64 v[0:1], v[158:159], v[8:9]
	v_fma_f64 v[46:47], v[156:157], v[10:11], -v[0:1]
	ds_load_b128 v[0:3], v131 offset:21600
	ds_load_b128 v[8:11], v131 offset:23760
	s_waitcnt lgkmcnt(1)
	v_mul_f64 v[48:49], v[170:171], v[2:3]
	s_delay_alu instid0(VALU_DEP_1) | instskip(SKIP_1) | instid1(VALU_DEP_1)
	v_fma_f64 v[48:49], v[168:169], v[0:1], v[48:49]
	v_mul_f64 v[0:1], v[170:171], v[0:1]
	v_fma_f64 v[50:51], v[168:169], v[2:3], -v[0:1]
	v_mul_f64 v[0:1], v[162:163], v[18:19]
	s_delay_alu instid0(VALU_DEP_1) | instskip(SKIP_1) | instid1(VALU_DEP_1)
	v_fma_f64 v[52:53], v[160:161], v[16:17], v[0:1]
	v_mul_f64 v[0:1], v[162:163], v[16:17]
	v_fma_f64 v[54:55], v[160:161], v[18:19], -v[0:1]
	;; [unrolled: 5-line block ×3, first 2 shown]
	v_mul_f64 v[0:1], v[174:175], v[14:15]
	s_delay_alu instid0(VALU_DEP_1) | instskip(SKIP_2) | instid1(VALU_DEP_2)
	v_fma_f64 v[60:61], v[172:173], v[12:13], v[0:1]
	v_mul_f64 v[0:1], v[174:175], v[12:13]
	v_add_f64 v[12:13], v[24:25], v[36:37]
	v_fma_f64 v[62:63], v[172:173], v[14:15], -v[0:1]
	s_waitcnt lgkmcnt(0)
	v_mul_f64 v[0:1], v[186:187], v[10:11]
	s_delay_alu instid0(VALU_DEP_1) | instskip(SKIP_1) | instid1(VALU_DEP_1)
	v_fma_f64 v[64:65], v[184:185], v[8:9], v[0:1]
	v_mul_f64 v[0:1], v[186:187], v[8:9]
	v_fma_f64 v[66:67], v[184:185], v[10:11], -v[0:1]
	ds_load_b128 v[0:3], v131 offset:30240
	s_waitcnt lgkmcnt(0)
	v_mul_f64 v[8:9], v[178:179], v[2:3]
	s_delay_alu instid0(VALU_DEP_1) | instskip(SKIP_1) | instid1(VALU_DEP_1)
	v_fma_f64 v[68:69], v[176:177], v[0:1], v[8:9]
	v_mul_f64 v[0:1], v[178:179], v[0:1]
	v_fma_f64 v[70:71], v[176:177], v[2:3], -v[0:1]
	v_add_f64 v[0:1], v[28:29], -v[24:25]
	v_add_f64 v[2:3], v[32:33], -v[36:37]
	s_delay_alu instid0(VALU_DEP_1) | instskip(SKIP_2) | instid1(VALU_DEP_1)
	v_add_f64 v[16:17], v[0:1], v[2:3]
	v_add_f64 v[0:1], v[30:31], -v[26:27]
	v_add_f64 v[2:3], v[34:35], -v[38:39]
	v_add_f64 v[18:19], v[0:1], v[2:3]
	ds_load_b128 v[0:3], v131
	ds_load_b128 v[8:11], v131 offset:2160
	s_waitcnt lgkmcnt(0)
	s_barrier
	buffer_gl0_inv
	v_fma_f64 v[20:21], v[12:13], -0.5, v[0:1]
	v_add_f64 v[12:13], v[26:27], v[38:39]
	s_delay_alu instid0(VALU_DEP_1) | instskip(NEXT) | instid1(VALU_DEP_3)
	v_fma_f64 v[22:23], v[12:13], -0.5, v[2:3]
	v_fma_f64 v[12:13], v[72:73], s[16:17], v[20:21]
	v_fma_f64 v[20:21], v[72:73], s[18:19], v[20:21]
	s_delay_alu instid0(VALU_DEP_3) | instskip(NEXT) | instid1(VALU_DEP_3)
	v_fma_f64 v[14:15], v[76:77], s[18:19], v[22:23]
	v_fma_f64 v[12:13], v[74:75], s[14:15], v[12:13]
	s_delay_alu instid0(VALU_DEP_3) | instskip(SKIP_1) | instid1(VALU_DEP_4)
	v_fma_f64 v[20:21], v[74:75], s[12:13], v[20:21]
	v_fma_f64 v[22:23], v[76:77], s[16:17], v[22:23]
	;; [unrolled: 1-line block ×3, first 2 shown]
	s_delay_alu instid0(VALU_DEP_4) | instskip(NEXT) | instid1(VALU_DEP_4)
	v_fma_f64 v[12:13], v[16:17], s[20:21], v[12:13]
	v_fma_f64 v[16:17], v[16:17], s[20:21], v[20:21]
	v_add_f64 v[20:21], v[28:29], v[32:33]
	v_fma_f64 v[22:23], v[78:79], s[14:15], v[22:23]
	v_fma_f64 v[14:15], v[18:19], s[20:21], v[14:15]
	s_delay_alu instid0(VALU_DEP_3) | instskip(SKIP_1) | instid1(VALU_DEP_4)
	v_fma_f64 v[20:21], v[20:21], -0.5, v[0:1]
	v_add_f64 v[0:1], v[0:1], v[24:25]
	v_fma_f64 v[18:19], v[18:19], s[20:21], v[22:23]
	v_add_f64 v[22:23], v[30:31], v[34:35]
	v_add_f64 v[24:25], v[24:25], -v[28:29]
	s_delay_alu instid0(VALU_DEP_4) | instskip(SKIP_1) | instid1(VALU_DEP_4)
	v_add_f64 v[0:1], v[0:1], v[28:29]
	v_add_f64 v[28:29], v[36:37], -v[32:33]
	v_fma_f64 v[22:23], v[22:23], -0.5, v[2:3]
	v_add_f64 v[2:3], v[2:3], v[26:27]
	v_add_f64 v[26:27], v[26:27], -v[30:31]
	v_add_f64 v[0:1], v[0:1], v[32:33]
	v_fma_f64 v[32:33], v[74:75], s[18:19], v[20:21]
	v_fma_f64 v[20:21], v[74:75], s[16:17], v[20:21]
	v_add_f64 v[2:3], v[2:3], v[30:31]
	v_add_f64 v[30:31], v[38:39], -v[34:35]
	v_add_f64 v[24:25], v[24:25], v[28:29]
	v_add_f64 v[0:1], v[0:1], v[36:37]
	v_fma_f64 v[28:29], v[72:73], s[14:15], v[32:33]
	v_add_f64 v[2:3], v[2:3], v[34:35]
	v_add_f64 v[26:27], v[26:27], v[30:31]
	v_fma_f64 v[30:31], v[72:73], s[12:13], v[20:21]
	v_fma_f64 v[34:35], v[78:79], s[16:17], v[22:23]
	;; [unrolled: 1-line block ×4, first 2 shown]
	scratch_load_b32 v28, off, off offset:492 ; 4-byte Folded Reload
	v_add_f64 v[2:3], v[2:3], v[38:39]
	v_fma_f64 v[24:25], v[24:25], s[20:21], v[30:31]
	v_fma_f64 v[32:33], v[76:77], s[12:13], v[34:35]
	;; [unrolled: 1-line block ×3, first 2 shown]
	v_add_f64 v[30:31], v[42:43], -v[46:47]
	s_delay_alu instid0(VALU_DEP_3) | instskip(NEXT) | instid1(VALU_DEP_3)
	v_fma_f64 v[22:23], v[26:27], s[20:21], v[32:33]
	v_fma_f64 v[26:27], v[26:27], s[20:21], v[34:35]
	s_waitcnt vmcnt(0)
	ds_store_b128 v28, v[0:3]
	ds_store_b128 v28, v[20:23] offset:720
	ds_store_b128 v28, v[12:15] offset:1440
	;; [unrolled: 1-line block ×4, first 2 shown]
	v_add_f64 v[0:1], v[44:45], -v[40:41]
	v_add_f64 v[2:3], v[48:49], -v[52:53]
	v_add_f64 v[20:21], v[46:47], -v[50:51]
	v_add_f64 v[24:25], v[44:45], -v[48:49]
	v_add_f64 v[22:23], v[42:43], -v[54:55]
	v_add_f64 v[26:27], v[40:41], -v[52:53]
	v_add_f64 v[28:29], v[40:41], -v[44:45]
	v_add_f64 v[32:33], v[52:53], -v[48:49]
	v_add_f64 v[34:35], v[54:55], -v[50:51]
	v_add_f64 v[12:13], v[0:1], v[2:3]
	v_add_f64 v[0:1], v[46:47], -v[42:43]
	v_add_f64 v[2:3], v[50:51], -v[54:55]
	s_delay_alu instid0(VALU_DEP_1) | instskip(SKIP_1) | instid1(VALU_DEP_1)
	v_add_f64 v[14:15], v[0:1], v[2:3]
	v_add_f64 v[0:1], v[40:41], v[52:53]
	v_fma_f64 v[16:17], v[0:1], -0.5, v[8:9]
	v_add_f64 v[0:1], v[42:43], v[54:55]
	s_delay_alu instid0(VALU_DEP_1) | instskip(NEXT) | instid1(VALU_DEP_3)
	v_fma_f64 v[18:19], v[0:1], -0.5, v[10:11]
	v_fma_f64 v[0:1], v[20:21], s[16:17], v[16:17]
	v_fma_f64 v[16:17], v[20:21], s[18:19], v[16:17]
	s_delay_alu instid0(VALU_DEP_3) | instskip(SKIP_1) | instid1(VALU_DEP_4)
	v_fma_f64 v[2:3], v[24:25], s[18:19], v[18:19]
	v_fma_f64 v[18:19], v[24:25], s[16:17], v[18:19]
	;; [unrolled: 1-line block ×3, first 2 shown]
	s_delay_alu instid0(VALU_DEP_4) | instskip(NEXT) | instid1(VALU_DEP_4)
	v_fma_f64 v[16:17], v[22:23], s[12:13], v[16:17]
	v_fma_f64 v[2:3], v[26:27], s[12:13], v[2:3]
	s_delay_alu instid0(VALU_DEP_4) | instskip(NEXT) | instid1(VALU_DEP_4)
	v_fma_f64 v[18:19], v[26:27], s[14:15], v[18:19]
	v_fma_f64 v[0:1], v[12:13], s[20:21], v[0:1]
	s_delay_alu instid0(VALU_DEP_4) | instskip(SKIP_4) | instid1(VALU_DEP_4)
	v_fma_f64 v[12:13], v[12:13], s[20:21], v[16:17]
	v_add_f64 v[16:17], v[44:45], v[48:49]
	v_fma_f64 v[2:3], v[14:15], s[20:21], v[2:3]
	v_fma_f64 v[14:15], v[14:15], s[20:21], v[18:19]
	v_add_f64 v[18:19], v[46:47], v[50:51]
	v_fma_f64 v[16:17], v[16:17], -0.5, v[8:9]
	v_add_f64 v[8:9], v[8:9], v[40:41]
	s_delay_alu instid0(VALU_DEP_3) | instskip(SKIP_1) | instid1(VALU_DEP_4)
	v_fma_f64 v[18:19], v[18:19], -0.5, v[10:11]
	v_add_f64 v[10:11], v[10:11], v[42:43]
	v_fma_f64 v[36:37], v[22:23], s[18:19], v[16:17]
	v_fma_f64 v[16:17], v[22:23], s[16:17], v[16:17]
	v_add_f64 v[8:9], v[8:9], v[44:45]
	v_fma_f64 v[22:23], v[26:27], s[16:17], v[18:19]
	v_fma_f64 v[18:19], v[26:27], s[18:19], v[18:19]
	v_add_f64 v[26:27], v[28:29], v[32:33]
	v_add_f64 v[28:29], v[30:31], v[34:35]
	;; [unrolled: 1-line block ×4, first 2 shown]
	v_fma_f64 v[30:31], v[20:21], s[14:15], v[36:37]
	v_fma_f64 v[20:21], v[20:21], s[12:13], v[16:17]
	v_fma_f64 v[22:23], v[24:25], s[12:13], v[22:23]
	v_fma_f64 v[24:25], v[24:25], s[14:15], v[18:19]
	v_add_f64 v[10:11], v[10:11], v[50:51]
	v_add_f64 v[8:9], v[8:9], v[52:53]
	v_fma_f64 v[16:17], v[26:27], s[20:21], v[30:31]
	v_fma_f64 v[20:21], v[26:27], s[20:21], v[20:21]
	v_add_f64 v[26:27], v[58:59], -v[62:63]
	v_add_f64 v[30:31], v[70:71], -v[66:67]
	v_fma_f64 v[18:19], v[28:29], s[20:21], v[22:23]
	v_fma_f64 v[22:23], v[28:29], s[20:21], v[24:25]
	scratch_load_b32 v24, off, off offset:488 ; 4-byte Folded Reload
	v_add_f64 v[28:29], v[68:69], -v[64:65]
	v_add_f64 v[10:11], v[10:11], v[54:55]
	s_waitcnt vmcnt(0)
	ds_store_b128 v24, v[8:11]
	ds_store_b128 v24, v[16:19] offset:720
	ds_store_b128 v24, v[0:3] offset:1440
	;; [unrolled: 1-line block ×4, first 2 shown]
	v_add_f64 v[0:1], v[60:61], -v[56:57]
	v_add_f64 v[2:3], v[64:65], -v[68:69]
	v_add_f64 v[16:17], v[62:63], -v[66:67]
	v_add_f64 v[20:21], v[60:61], -v[64:65]
	v_add_f64 v[18:19], v[58:59], -v[70:71]
	v_add_f64 v[22:23], v[56:57], -v[68:69]
	v_add_f64 v[24:25], v[56:57], -v[60:61]
	v_add_f64 v[8:9], v[0:1], v[2:3]
	v_add_f64 v[0:1], v[62:63], -v[58:59]
	v_add_f64 v[2:3], v[66:67], -v[70:71]
	s_delay_alu instid0(VALU_DEP_1) | instskip(SKIP_1) | instid1(VALU_DEP_1)
	v_add_f64 v[10:11], v[0:1], v[2:3]
	v_add_f64 v[0:1], v[56:57], v[68:69]
	v_fma_f64 v[12:13], v[0:1], -0.5, v[4:5]
	v_add_f64 v[0:1], v[58:59], v[70:71]
	s_delay_alu instid0(VALU_DEP_1) | instskip(NEXT) | instid1(VALU_DEP_3)
	v_fma_f64 v[14:15], v[0:1], -0.5, v[6:7]
	v_fma_f64 v[0:1], v[16:17], s[16:17], v[12:13]
	v_fma_f64 v[12:13], v[16:17], s[18:19], v[12:13]
	s_delay_alu instid0(VALU_DEP_3) | instskip(SKIP_1) | instid1(VALU_DEP_4)
	v_fma_f64 v[2:3], v[20:21], s[18:19], v[14:15]
	v_fma_f64 v[14:15], v[20:21], s[16:17], v[14:15]
	v_fma_f64 v[0:1], v[18:19], s[14:15], v[0:1]
	s_delay_alu instid0(VALU_DEP_4) | instskip(NEXT) | instid1(VALU_DEP_4)
	v_fma_f64 v[12:13], v[18:19], s[12:13], v[12:13]
	v_fma_f64 v[2:3], v[22:23], s[12:13], v[2:3]
	s_delay_alu instid0(VALU_DEP_4) | instskip(NEXT) | instid1(VALU_DEP_4)
	v_fma_f64 v[14:15], v[22:23], s[14:15], v[14:15]
	v_fma_f64 v[0:1], v[8:9], s[20:21], v[0:1]
	s_delay_alu instid0(VALU_DEP_4) | instskip(SKIP_4) | instid1(VALU_DEP_4)
	v_fma_f64 v[8:9], v[8:9], s[20:21], v[12:13]
	v_add_f64 v[12:13], v[60:61], v[64:65]
	v_fma_f64 v[2:3], v[10:11], s[20:21], v[2:3]
	v_fma_f64 v[10:11], v[10:11], s[20:21], v[14:15]
	v_add_f64 v[14:15], v[62:63], v[66:67]
	v_fma_f64 v[12:13], v[12:13], -0.5, v[4:5]
	v_add_f64 v[4:5], v[4:5], v[56:57]
	s_delay_alu instid0(VALU_DEP_3) | instskip(SKIP_1) | instid1(VALU_DEP_4)
	v_fma_f64 v[14:15], v[14:15], -0.5, v[6:7]
	v_add_f64 v[6:7], v[6:7], v[58:59]
	v_fma_f64 v[32:33], v[18:19], s[18:19], v[12:13]
	v_fma_f64 v[12:13], v[18:19], s[16:17], v[12:13]
	v_add_f64 v[4:5], v[4:5], v[60:61]
	v_fma_f64 v[18:19], v[22:23], s[16:17], v[14:15]
	v_fma_f64 v[14:15], v[22:23], s[18:19], v[14:15]
	v_add_f64 v[22:23], v[24:25], v[28:29]
	v_add_f64 v[24:25], v[26:27], v[30:31]
	;; [unrolled: 1-line block ×4, first 2 shown]
	v_fma_f64 v[26:27], v[16:17], s[14:15], v[32:33]
	v_fma_f64 v[16:17], v[16:17], s[12:13], v[12:13]
	;; [unrolled: 1-line block ×4, first 2 shown]
	v_add_f64 v[6:7], v[6:7], v[66:67]
	v_add_f64 v[4:5], v[4:5], v[68:69]
	v_fma_f64 v[12:13], v[22:23], s[20:21], v[26:27]
	v_fma_f64 v[16:17], v[22:23], s[20:21], v[16:17]
	;; [unrolled: 1-line block ×4, first 2 shown]
	scratch_load_b32 v20, off, off offset:436 ; 4-byte Folded Reload
	v_add_f64 v[6:7], v[6:7], v[70:71]
	s_waitcnt vmcnt(0)
	ds_store_b128 v20, v[4:7]
	ds_store_b128 v20, v[12:15] offset:720
	ds_store_b128 v20, v[0:3] offset:1440
	;; [unrolled: 1-line block ×4, first 2 shown]
	s_waitcnt lgkmcnt(0)
	s_barrier
	buffer_gl0_inv
	ds_load_b128 v[0:3], v131 offset:10800
	ds_load_b128 v[4:7], v131 offset:8640
	scratch_load_b128 v[10:13], off, off offset:372 ; 16-byte Folded Reload
	s_waitcnt vmcnt(0) lgkmcnt(1)
	v_mul_f64 v[8:9], v[12:13], v[2:3]
	s_delay_alu instid0(VALU_DEP_1) | instskip(SKIP_1) | instid1(VALU_DEP_1)
	v_fma_f64 v[16:17], v[10:11], v[0:1], v[8:9]
	v_mul_f64 v[0:1], v[12:13], v[0:1]
	v_fma_f64 v[18:19], v[10:11], v[2:3], -v[0:1]
	ds_load_b128 v[0:3], v131 offset:21600
	ds_load_b128 v[8:11], v131 offset:23760
	scratch_load_b128 v[22:25], off, off offset:356 ; 16-byte Folded Reload
	s_waitcnt vmcnt(0) lgkmcnt(1)
	v_mul_f64 v[12:13], v[24:25], v[2:3]
	s_delay_alu instid0(VALU_DEP_1) | instskip(SKIP_1) | instid1(VALU_DEP_1)
	v_fma_f64 v[20:21], v[22:23], v[0:1], v[12:13]
	v_mul_f64 v[0:1], v[24:25], v[0:1]
	v_fma_f64 v[22:23], v[22:23], v[2:3], -v[0:1]
	ds_load_b128 v[0:3], v131 offset:12960
	ds_load_b128 v[12:15], v131 offset:15120
	s_clause 0x1
	scratch_load_b128 v[26:29], off, off offset:388
	scratch_load_b128 v[30:33], off, off offset:404
	s_waitcnt vmcnt(1) lgkmcnt(1)
	v_mul_f64 v[24:25], v[28:29], v[2:3]
	s_delay_alu instid0(VALU_DEP_1) | instskip(SKIP_1) | instid1(VALU_DEP_1)
	v_fma_f64 v[24:25], v[26:27], v[0:1], v[24:25]
	v_mul_f64 v[0:1], v[28:29], v[0:1]
	v_fma_f64 v[26:27], v[26:27], v[2:3], -v[0:1]
	s_waitcnt vmcnt(0)
	v_mul_f64 v[0:1], v[32:33], v[10:11]
	s_delay_alu instid0(VALU_DEP_1) | instskip(SKIP_1) | instid1(VALU_DEP_1)
	v_fma_f64 v[28:29], v[30:31], v[8:9], v[0:1]
	v_mul_f64 v[0:1], v[32:33], v[8:9]
	v_fma_f64 v[30:31], v[30:31], v[10:11], -v[0:1]
	s_waitcnt lgkmcnt(0)
	v_mul_f64 v[0:1], v[122:123], v[14:15]
	s_delay_alu instid0(VALU_DEP_1) | instskip(SKIP_1) | instid1(VALU_DEP_1)
	v_fma_f64 v[36:37], v[120:121], v[12:13], v[0:1]
	v_mul_f64 v[0:1], v[122:123], v[12:13]
	v_fma_f64 v[38:39], v[120:121], v[14:15], -v[0:1]
	ds_load_b128 v[0:3], v131 offset:25920
	ds_load_b128 v[8:11], v131 offset:28080
	scratch_load_b128 v[32:35], off, off offset:420 ; 16-byte Folded Reload
	s_waitcnt vmcnt(0) lgkmcnt(1)
	v_mul_f64 v[12:13], v[34:35], v[2:3]
	s_delay_alu instid0(VALU_DEP_1) | instskip(SKIP_1) | instid1(VALU_DEP_1)
	v_fma_f64 v[40:41], v[32:33], v[0:1], v[12:13]
	v_mul_f64 v[0:1], v[34:35], v[0:1]
	v_fma_f64 v[42:43], v[32:33], v[2:3], -v[0:1]
	ds_load_b128 v[0:3], v131 offset:17280
	ds_load_b128 v[12:15], v131 offset:19440
	s_waitcnt lgkmcnt(1)
	v_mul_f64 v[32:33], v[115:116], v[2:3]
	s_delay_alu instid0(VALU_DEP_1) | instskip(SKIP_1) | instid1(VALU_DEP_1)
	v_fma_f64 v[44:45], v[113:114], v[0:1], v[32:33]
	v_mul_f64 v[0:1], v[115:116], v[0:1]
	v_fma_f64 v[46:47], v[113:114], v[2:3], -v[0:1]
	v_mul_f64 v[0:1], v[126:127], v[10:11]
	s_delay_alu instid0(VALU_DEP_1) | instskip(SKIP_1) | instid1(VALU_DEP_1)
	v_fma_f64 v[48:49], v[124:125], v[8:9], v[0:1]
	v_mul_f64 v[0:1], v[126:127], v[8:9]
	v_fma_f64 v[50:51], v[124:125], v[10:11], -v[0:1]
	s_waitcnt lgkmcnt(0)
	v_mul_f64 v[0:1], v[107:108], v[14:15]
	s_delay_alu instid0(VALU_DEP_1) | instskip(SKIP_2) | instid1(VALU_DEP_2)
	v_fma_f64 v[52:53], v[105:106], v[12:13], v[0:1]
	v_mul_f64 v[0:1], v[107:108], v[12:13]
	v_add_f64 v[12:13], v[16:17], v[20:21]
	v_fma_f64 v[54:55], v[105:106], v[14:15], -v[0:1]
	ds_load_b128 v[0:3], v131 offset:30240
	s_waitcnt lgkmcnt(0)
	v_mul_f64 v[8:9], v[111:112], v[2:3]
	s_delay_alu instid0(VALU_DEP_1) | instskip(SKIP_1) | instid1(VALU_DEP_1)
	v_fma_f64 v[56:57], v[109:110], v[0:1], v[8:9]
	v_mul_f64 v[0:1], v[111:112], v[0:1]
	v_fma_f64 v[58:59], v[109:110], v[2:3], -v[0:1]
	ds_load_b128 v[0:3], v131
	ds_load_b128 v[8:11], v131 offset:2160
	s_waitcnt lgkmcnt(1)
	v_fma_f64 v[14:15], v[12:13], -0.5, v[0:1]
	v_add_f64 v[12:13], v[18:19], v[22:23]
	v_add_f64 v[0:1], v[0:1], v[16:17]
	s_delay_alu instid0(VALU_DEP_2) | instskip(SKIP_2) | instid1(VALU_DEP_4)
	v_fma_f64 v[32:33], v[12:13], -0.5, v[2:3]
	v_add_f64 v[2:3], v[2:3], v[18:19]
	v_add_f64 v[18:19], v[18:19], -v[22:23]
	v_add_f64 v[0:1], v[0:1], v[20:21]
	v_add_f64 v[20:21], v[16:17], -v[20:21]
	s_delay_alu instid0(VALU_DEP_4) | instskip(NEXT) | instid1(VALU_DEP_4)
	v_add_f64 v[2:3], v[2:3], v[22:23]
	v_fma_f64 v[12:13], v[18:19], s[8:9], v[14:15]
	v_fma_f64 v[16:17], v[18:19], s[2:3], v[14:15]
	s_delay_alu instid0(VALU_DEP_4) | instskip(SKIP_3) | instid1(VALU_DEP_1)
	v_fma_f64 v[14:15], v[20:21], s[2:3], v[32:33]
	v_fma_f64 v[18:19], v[20:21], s[8:9], v[32:33]
	v_add_f64 v[20:21], v[24:25], v[28:29]
	s_waitcnt lgkmcnt(0)
	v_fma_f64 v[22:23], v[20:21], -0.5, v[8:9]
	v_add_f64 v[20:21], v[26:27], v[30:31]
	v_add_f64 v[8:9], v[8:9], v[24:25]
	s_delay_alu instid0(VALU_DEP_2) | instskip(SKIP_2) | instid1(VALU_DEP_4)
	v_fma_f64 v[32:33], v[20:21], -0.5, v[10:11]
	v_add_f64 v[10:11], v[10:11], v[26:27]
	v_add_f64 v[26:27], v[26:27], -v[30:31]
	v_add_f64 v[8:9], v[8:9], v[28:29]
	v_add_f64 v[28:29], v[24:25], -v[28:29]
	s_delay_alu instid0(VALU_DEP_4) | instskip(NEXT) | instid1(VALU_DEP_4)
	v_add_f64 v[10:11], v[10:11], v[30:31]
	v_fma_f64 v[20:21], v[26:27], s[8:9], v[22:23]
	v_fma_f64 v[24:25], v[26:27], s[2:3], v[22:23]
	s_delay_alu instid0(VALU_DEP_4)
	v_fma_f64 v[22:23], v[28:29], s[2:3], v[32:33]
	v_fma_f64 v[26:27], v[28:29], s[8:9], v[32:33]
	ds_load_b128 v[28:31], v131 offset:4320
	ds_load_b128 v[32:35], v131 offset:6480
	s_waitcnt lgkmcnt(0)
	s_barrier
	buffer_gl0_inv
	ds_store_b128 v131, v[0:3]
	ds_store_b128 v131, v[12:15] offset:3600
	ds_store_b128 v131, v[16:19] offset:7200
	ds_store_b128 v128, v[8:11]
	ds_store_b128 v128, v[20:23] offset:3600
	ds_store_b128 v128, v[24:27] offset:7200
	v_add_f64 v[0:1], v[36:37], v[40:41]
	v_add_f64 v[8:9], v[28:29], v[36:37]
	v_add_f64 v[12:13], v[38:39], -v[42:43]
	v_add_f64 v[16:17], v[36:37], -v[40:41]
	v_add_f64 v[20:21], v[32:33], v[44:45]
	v_add_f64 v[24:25], v[46:47], -v[50:51]
	v_fma_f64 v[10:11], v[0:1], -0.5, v[28:29]
	v_add_f64 v[0:1], v[38:39], v[42:43]
	v_add_f64 v[28:29], v[44:45], -v[48:49]
	s_delay_alu instid0(VALU_DEP_2) | instskip(SKIP_1) | instid1(VALU_DEP_1)
	v_fma_f64 v[14:15], v[0:1], -0.5, v[30:31]
	v_add_f64 v[0:1], v[30:31], v[38:39]
	v_add_f64 v[2:3], v[0:1], v[42:43]
	v_add_f64 v[0:1], v[8:9], v[40:41]
	v_fma_f64 v[8:9], v[12:13], s[8:9], v[10:11]
	v_fma_f64 v[12:13], v[12:13], s[2:3], v[10:11]
	;; [unrolled: 1-line block ×4, first 2 shown]
	v_add_f64 v[16:17], v[44:45], v[48:49]
	s_delay_alu instid0(VALU_DEP_1) | instskip(SKIP_1) | instid1(VALU_DEP_1)
	v_fma_f64 v[22:23], v[16:17], -0.5, v[32:33]
	v_add_f64 v[16:17], v[46:47], v[50:51]
	v_fma_f64 v[26:27], v[16:17], -0.5, v[34:35]
	v_add_f64 v[16:17], v[34:35], v[46:47]
	s_delay_alu instid0(VALU_DEP_1)
	v_add_f64 v[18:19], v[16:17], v[50:51]
	v_add_f64 v[16:17], v[20:21], v[48:49]
	v_fma_f64 v[20:21], v[24:25], s[8:9], v[22:23]
	v_fma_f64 v[24:25], v[24:25], s[2:3], v[22:23]
	;; [unrolled: 1-line block ×4, first 2 shown]
	ds_store_b128 v131, v[0:3] offset:11520
	ds_store_b128 v131, v[8:11] offset:15120
	;; [unrolled: 1-line block ×3, first 2 shown]
	ds_store_b128 v90, v[16:19]
	ds_store_b128 v90, v[20:23] offset:3600
	ds_store_b128 v90, v[24:27] offset:7200
	v_add_f64 v[0:1], v[52:53], v[56:57]
	v_add_f64 v[12:13], v[52:53], -v[56:57]
	s_delay_alu instid0(VALU_DEP_2) | instskip(SKIP_2) | instid1(VALU_DEP_2)
	v_fma_f64 v[8:9], v[0:1], -0.5, v[4:5]
	v_add_f64 v[0:1], v[54:55], v[58:59]
	v_add_f64 v[4:5], v[4:5], v[52:53]
	v_fma_f64 v[10:11], v[0:1], -0.5, v[6:7]
	v_add_f64 v[0:1], v[6:7], v[54:55]
	v_add_f64 v[6:7], v[54:55], -v[58:59]
	s_delay_alu instid0(VALU_DEP_2) | instskip(SKIP_1) | instid1(VALU_DEP_3)
	v_add_f64 v[2:3], v[0:1], v[58:59]
	v_add_f64 v[0:1], v[4:5], v[56:57]
	v_fma_f64 v[4:5], v[6:7], s[8:9], v[8:9]
	v_fma_f64 v[8:9], v[6:7], s[2:3], v[8:9]
	;; [unrolled: 1-line block ×4, first 2 shown]
	ds_store_b128 v89, v[0:3] offset:21600
	ds_store_b128 v89, v[4:7] offset:25200
	;; [unrolled: 1-line block ×3, first 2 shown]
	s_waitcnt lgkmcnt(0)
	s_barrier
	buffer_gl0_inv
	ds_load_b128 v[0:3], v131 offset:10800
	ds_load_b128 v[4:7], v131 offset:8640
	scratch_load_b128 v[10:13], off, off offset:276 ; 16-byte Folded Reload
	s_waitcnt vmcnt(0) lgkmcnt(1)
	v_mul_f64 v[8:9], v[12:13], v[2:3]
	s_delay_alu instid0(VALU_DEP_1) | instskip(SKIP_1) | instid1(VALU_DEP_1)
	v_fma_f64 v[16:17], v[10:11], v[0:1], v[8:9]
	v_mul_f64 v[0:1], v[12:13], v[0:1]
	v_fma_f64 v[18:19], v[10:11], v[2:3], -v[0:1]
	ds_load_b128 v[0:3], v131 offset:21600
	ds_load_b128 v[8:11], v131 offset:23760
	scratch_load_b128 v[22:25], off, off offset:260 ; 16-byte Folded Reload
	s_waitcnt vmcnt(0) lgkmcnt(1)
	v_mul_f64 v[12:13], v[24:25], v[2:3]
	s_delay_alu instid0(VALU_DEP_1) | instskip(SKIP_1) | instid1(VALU_DEP_1)
	v_fma_f64 v[20:21], v[22:23], v[0:1], v[12:13]
	v_mul_f64 v[0:1], v[24:25], v[0:1]
	v_fma_f64 v[22:23], v[22:23], v[2:3], -v[0:1]
	ds_load_b128 v[0:3], v131 offset:12960
	ds_load_b128 v[12:15], v131 offset:15120
	s_clause 0x1
	scratch_load_b128 v[26:29], off, off offset:292
	scratch_load_b128 v[30:33], off, off offset:308
	s_waitcnt vmcnt(1) lgkmcnt(1)
	v_mul_f64 v[24:25], v[28:29], v[2:3]
	s_delay_alu instid0(VALU_DEP_1) | instskip(SKIP_1) | instid1(VALU_DEP_1)
	v_fma_f64 v[24:25], v[26:27], v[0:1], v[24:25]
	v_mul_f64 v[0:1], v[28:29], v[0:1]
	v_fma_f64 v[26:27], v[26:27], v[2:3], -v[0:1]
	s_waitcnt vmcnt(0)
	v_mul_f64 v[0:1], v[32:33], v[10:11]
	s_delay_alu instid0(VALU_DEP_1) | instskip(SKIP_1) | instid1(VALU_DEP_1)
	v_fma_f64 v[28:29], v[30:31], v[8:9], v[0:1]
	v_mul_f64 v[0:1], v[32:33], v[8:9]
	v_fma_f64 v[30:31], v[30:31], v[10:11], -v[0:1]
	scratch_load_b128 v[8:11], off, off offset:340 ; 16-byte Folded Reload
	s_waitcnt vmcnt(0) lgkmcnt(0)
	v_mul_f64 v[0:1], v[10:11], v[14:15]
	s_delay_alu instid0(VALU_DEP_1) | instskip(SKIP_1) | instid1(VALU_DEP_1)
	v_fma_f64 v[36:37], v[8:9], v[12:13], v[0:1]
	v_mul_f64 v[0:1], v[10:11], v[12:13]
	v_fma_f64 v[38:39], v[8:9], v[14:15], -v[0:1]
	ds_load_b128 v[0:3], v131 offset:25920
	ds_load_b128 v[8:11], v131 offset:28080
	scratch_load_b128 v[32:35], off, off offset:324 ; 16-byte Folded Reload
	s_waitcnt vmcnt(0) lgkmcnt(1)
	v_mul_f64 v[12:13], v[34:35], v[2:3]
	s_delay_alu instid0(VALU_DEP_1) | instskip(SKIP_1) | instid1(VALU_DEP_2)
	v_fma_f64 v[40:41], v[32:33], v[0:1], v[12:13]
	v_mul_f64 v[0:1], v[34:35], v[0:1]
	v_add_f64 v[60:61], v[36:37], v[40:41]
	s_delay_alu instid0(VALU_DEP_2)
	v_fma_f64 v[42:43], v[32:33], v[2:3], -v[0:1]
	ds_load_b128 v[0:3], v131 offset:17280
	ds_load_b128 v[12:15], v131 offset:19440
	s_waitcnt lgkmcnt(1)
	v_mul_f64 v[32:33], v[98:99], v[2:3]
	v_add_f64 v[62:63], v[38:39], v[42:43]
	s_delay_alu instid0(VALU_DEP_2) | instskip(SKIP_1) | instid1(VALU_DEP_1)
	v_fma_f64 v[44:45], v[96:97], v[0:1], v[32:33]
	v_mul_f64 v[0:1], v[98:99], v[0:1]
	v_fma_f64 v[46:47], v[96:97], v[2:3], -v[0:1]
	v_mul_f64 v[0:1], v[94:95], v[10:11]
	s_delay_alu instid0(VALU_DEP_1) | instskip(SKIP_1) | instid1(VALU_DEP_1)
	v_fma_f64 v[48:49], v[92:93], v[8:9], v[0:1]
	v_mul_f64 v[0:1], v[94:95], v[8:9]
	v_fma_f64 v[50:51], v[92:93], v[10:11], -v[0:1]
	s_waitcnt lgkmcnt(0)
	v_mul_f64 v[0:1], v[87:88], v[14:15]
	s_delay_alu instid0(VALU_DEP_1) | instskip(SKIP_2) | instid1(VALU_DEP_2)
	v_fma_f64 v[52:53], v[85:86], v[12:13], v[0:1]
	v_mul_f64 v[0:1], v[87:88], v[12:13]
	v_add_f64 v[12:13], v[16:17], v[20:21]
	v_fma_f64 v[54:55], v[85:86], v[14:15], -v[0:1]
	ds_load_b128 v[0:3], v131 offset:30240
	s_waitcnt lgkmcnt(0)
	v_mul_f64 v[8:9], v[102:103], v[2:3]
	s_delay_alu instid0(VALU_DEP_1) | instskip(SKIP_1) | instid1(VALU_DEP_1)
	v_fma_f64 v[56:57], v[100:101], v[0:1], v[8:9]
	v_mul_f64 v[0:1], v[102:103], v[0:1]
	v_fma_f64 v[58:59], v[100:101], v[2:3], -v[0:1]
	ds_load_b128 v[0:3], v131
	ds_load_b128 v[8:11], v131 offset:2160
	s_waitcnt lgkmcnt(1)
	v_fma_f64 v[14:15], v[12:13], -0.5, v[0:1]
	v_add_f64 v[12:13], v[18:19], v[22:23]
	v_add_f64 v[0:1], v[0:1], v[16:17]
	s_delay_alu instid0(VALU_DEP_2) | instskip(SKIP_2) | instid1(VALU_DEP_4)
	v_fma_f64 v[32:33], v[12:13], -0.5, v[2:3]
	v_add_f64 v[2:3], v[2:3], v[18:19]
	v_add_f64 v[18:19], v[18:19], -v[22:23]
	v_add_f64 v[0:1], v[0:1], v[20:21]
	v_add_f64 v[20:21], v[16:17], -v[20:21]
	s_delay_alu instid0(VALU_DEP_4) | instskip(NEXT) | instid1(VALU_DEP_4)
	v_add_f64 v[2:3], v[2:3], v[22:23]
	v_fma_f64 v[12:13], v[18:19], s[8:9], v[14:15]
	v_fma_f64 v[16:17], v[18:19], s[2:3], v[14:15]
	s_delay_alu instid0(VALU_DEP_4) | instskip(SKIP_3) | instid1(VALU_DEP_1)
	v_fma_f64 v[14:15], v[20:21], s[2:3], v[32:33]
	v_fma_f64 v[18:19], v[20:21], s[8:9], v[32:33]
	v_add_f64 v[20:21], v[24:25], v[28:29]
	s_waitcnt lgkmcnt(0)
	v_fma_f64 v[22:23], v[20:21], -0.5, v[8:9]
	v_add_f64 v[20:21], v[26:27], v[30:31]
	v_add_f64 v[8:9], v[8:9], v[24:25]
	s_delay_alu instid0(VALU_DEP_2) | instskip(SKIP_2) | instid1(VALU_DEP_4)
	v_fma_f64 v[32:33], v[20:21], -0.5, v[10:11]
	v_add_f64 v[10:11], v[10:11], v[26:27]
	v_add_f64 v[26:27], v[26:27], -v[30:31]
	v_add_f64 v[8:9], v[8:9], v[28:29]
	v_add_f64 v[28:29], v[24:25], -v[28:29]
	s_delay_alu instid0(VALU_DEP_4) | instskip(NEXT) | instid1(VALU_DEP_4)
	v_add_f64 v[10:11], v[10:11], v[30:31]
	v_fma_f64 v[20:21], v[26:27], s[8:9], v[22:23]
	v_fma_f64 v[24:25], v[26:27], s[2:3], v[22:23]
	s_delay_alu instid0(VALU_DEP_4)
	v_fma_f64 v[22:23], v[28:29], s[2:3], v[32:33]
	v_fma_f64 v[26:27], v[28:29], s[8:9], v[32:33]
	ds_load_b128 v[28:31], v131 offset:4320
	ds_load_b128 v[32:35], v131 offset:6480
	s_waitcnt lgkmcnt(1)
	v_fma_f64 v[62:63], v[62:63], -0.5, v[30:31]
	v_add_f64 v[30:31], v[30:31], v[38:39]
	v_fma_f64 v[60:61], v[60:61], -0.5, v[28:29]
	v_add_f64 v[28:29], v[28:29], v[36:37]
	v_add_f64 v[38:39], v[38:39], -v[42:43]
	s_delay_alu instid0(VALU_DEP_4) | instskip(SKIP_1) | instid1(VALU_DEP_4)
	v_add_f64 v[30:31], v[30:31], v[42:43]
	v_add_f64 v[42:43], v[36:37], -v[40:41]
	v_add_f64 v[28:29], v[28:29], v[40:41]
	s_delay_alu instid0(VALU_DEP_4)
	v_fma_f64 v[36:37], v[38:39], s[8:9], v[60:61]
	v_fma_f64 v[40:41], v[38:39], s[2:3], v[60:61]
	v_add_f64 v[60:61], v[44:45], v[48:49]
	v_fma_f64 v[38:39], v[42:43], s[2:3], v[62:63]
	v_fma_f64 v[42:43], v[42:43], s[8:9], v[62:63]
	v_add_f64 v[62:63], v[46:47], v[50:51]
	s_waitcnt lgkmcnt(0)
	s_delay_alu instid0(VALU_DEP_4) | instskip(SKIP_1) | instid1(VALU_DEP_3)
	v_fma_f64 v[60:61], v[60:61], -0.5, v[32:33]
	v_add_f64 v[32:33], v[32:33], v[44:45]
	v_fma_f64 v[62:63], v[62:63], -0.5, v[34:35]
	v_add_f64 v[34:35], v[34:35], v[46:47]
	v_add_f64 v[46:47], v[46:47], -v[50:51]
	s_delay_alu instid0(VALU_DEP_4) | instskip(NEXT) | instid1(VALU_DEP_3)
	v_add_f64 v[32:33], v[32:33], v[48:49]
	v_add_f64 v[34:35], v[34:35], v[50:51]
	v_add_f64 v[50:51], v[44:45], -v[48:49]
	s_delay_alu instid0(VALU_DEP_4) | instskip(SKIP_2) | instid1(VALU_DEP_4)
	v_fma_f64 v[44:45], v[46:47], s[8:9], v[60:61]
	v_fma_f64 v[48:49], v[46:47], s[2:3], v[60:61]
	v_add_f64 v[60:61], v[52:53], v[56:57]
	v_fma_f64 v[46:47], v[50:51], s[2:3], v[62:63]
	v_fma_f64 v[50:51], v[50:51], s[8:9], v[62:63]
	v_add_f64 v[62:63], v[54:55], v[58:59]
	s_delay_alu instid0(VALU_DEP_4) | instskip(SKIP_1) | instid1(VALU_DEP_3)
	v_fma_f64 v[60:61], v[60:61], -0.5, v[4:5]
	v_add_f64 v[4:5], v[4:5], v[52:53]
	v_fma_f64 v[62:63], v[62:63], -0.5, v[6:7]
	v_add_f64 v[6:7], v[6:7], v[54:55]
	v_add_f64 v[54:55], v[54:55], -v[58:59]
	s_delay_alu instid0(VALU_DEP_4) | instskip(NEXT) | instid1(VALU_DEP_3)
	v_add_f64 v[4:5], v[4:5], v[56:57]
	v_add_f64 v[6:7], v[6:7], v[58:59]
	v_add_f64 v[58:59], v[52:53], -v[56:57]
	s_delay_alu instid0(VALU_DEP_4) | instskip(SKIP_1) | instid1(VALU_DEP_3)
	v_fma_f64 v[52:53], v[54:55], s[8:9], v[60:61]
	v_fma_f64 v[56:57], v[54:55], s[2:3], v[60:61]
	;; [unrolled: 1-line block ×4, first 2 shown]
	ds_store_b128 v131, v[0:3]
	ds_store_b128 v131, v[8:11] offset:2160
	ds_store_b128 v131, v[28:31] offset:4320
	;; [unrolled: 1-line block ×14, first 2 shown]
	s_waitcnt lgkmcnt(0)
	s_barrier
	buffer_gl0_inv
	ds_load_b128 v[0:3], v131
	ds_load_b128 v[4:7], v131 offset:2160
	scratch_load_b128 v[10:13], off, off offset:184 ; 16-byte Folded Reload
	s_mul_i32 s2, s5, 0x2a30
	s_mul_hi_u32 s3, s4, 0x2a30
	s_delay_alu instid0(SALU_CYCLE_1) | instskip(SKIP_1) | instid1(SALU_CYCLE_1)
	s_add_i32 s3, s3, s2
	s_mul_hi_u32 s2, s4, 0xffffb410
	s_sub_i32 s2, s2, s4
	s_waitcnt vmcnt(0) lgkmcnt(1)
	v_mul_f64 v[8:9], v[12:13], v[2:3]
	s_delay_alu instid0(VALU_DEP_1) | instskip(SKIP_1) | instid1(VALU_DEP_1)
	v_fma_f64 v[16:17], v[10:11], v[0:1], v[8:9]
	v_mul_f64 v[0:1], v[12:13], v[0:1]
	v_fma_f64 v[18:19], v[10:11], v[2:3], -v[0:1]
	ds_load_b128 v[0:3], v131 offset:10800
	ds_load_b128 v[8:11], v131 offset:8640
	scratch_load_b128 v[22:25], off, off offset:8 ; 16-byte Folded Reload
	s_waitcnt vmcnt(0) lgkmcnt(1)
	v_mul_f64 v[12:13], v[24:25], v[2:3]
	s_delay_alu instid0(VALU_DEP_1) | instskip(SKIP_1) | instid1(VALU_DEP_1)
	v_fma_f64 v[20:21], v[22:23], v[0:1], v[12:13]
	v_mul_f64 v[0:1], v[24:25], v[0:1]
	v_fma_f64 v[22:23], v[22:23], v[2:3], -v[0:1]
	ds_load_b128 v[0:3], v131 offset:21600
	ds_load_b128 v[12:15], v131 offset:23760
	s_clause 0x1
	scratch_load_b128 v[26:29], off, off offset:24
	scratch_load_b128 v[30:33], off, off offset:40
	s_waitcnt vmcnt(1) lgkmcnt(1)
	v_mul_f64 v[24:25], v[28:29], v[2:3]
	s_delay_alu instid0(VALU_DEP_1) | instskip(SKIP_1) | instid1(VALU_DEP_1)
	v_fma_f64 v[24:25], v[26:27], v[0:1], v[24:25]
	v_mul_f64 v[0:1], v[28:29], v[0:1]
	v_fma_f64 v[26:27], v[26:27], v[2:3], -v[0:1]
	s_waitcnt vmcnt(0)
	v_mul_f64 v[0:1], v[32:33], v[6:7]
	s_delay_alu instid0(VALU_DEP_1) | instskip(SKIP_1) | instid1(VALU_DEP_1)
	v_fma_f64 v[28:29], v[30:31], v[4:5], v[0:1]
	v_mul_f64 v[0:1], v[32:33], v[4:5]
	v_fma_f64 v[30:31], v[30:31], v[6:7], -v[0:1]
	ds_load_b128 v[0:3], v131 offset:12960
	ds_load_b128 v[4:7], v131 offset:15120
	s_clause 0x1
	scratch_load_b128 v[34:37], off, off offset:56
	scratch_load_b128 v[38:41], off, off offset:72
	s_waitcnt vmcnt(1) lgkmcnt(1)
	v_mul_f64 v[32:33], v[36:37], v[2:3]
	s_delay_alu instid0(VALU_DEP_1) | instskip(SKIP_1) | instid1(VALU_DEP_1)
	v_fma_f64 v[32:33], v[34:35], v[0:1], v[32:33]
	v_mul_f64 v[0:1], v[36:37], v[0:1]
	v_fma_f64 v[34:35], v[34:35], v[2:3], -v[0:1]
	s_waitcnt vmcnt(0)
	v_mul_f64 v[0:1], v[40:41], v[14:15]
	s_delay_alu instid0(VALU_DEP_1) | instskip(SKIP_1) | instid1(VALU_DEP_1)
	v_fma_f64 v[36:37], v[38:39], v[12:13], v[0:1]
	v_mul_f64 v[0:1], v[40:41], v[12:13]
	v_fma_f64 v[38:39], v[38:39], v[14:15], -v[0:1]
	ds_load_b128 v[0:3], v131 offset:4320
	ds_load_b128 v[12:15], v131 offset:6480
	s_clause 0x1
	scratch_load_b128 v[42:45], off, off offset:88
	scratch_load_b128 v[46:49], off, off offset:104
	s_waitcnt vmcnt(1) lgkmcnt(1)
	v_mul_f64 v[40:41], v[44:45], v[2:3]
	s_delay_alu instid0(VALU_DEP_1) | instskip(SKIP_1) | instid1(VALU_DEP_1)
	v_fma_f64 v[40:41], v[42:43], v[0:1], v[40:41]
	v_mul_f64 v[0:1], v[44:45], v[0:1]
	v_fma_f64 v[42:43], v[42:43], v[2:3], -v[0:1]
	s_waitcnt vmcnt(0)
	v_mul_f64 v[0:1], v[48:49], v[6:7]
	s_delay_alu instid0(VALU_DEP_1) | instskip(SKIP_1) | instid1(VALU_DEP_1)
	v_fma_f64 v[44:45], v[46:47], v[4:5], v[0:1]
	v_mul_f64 v[0:1], v[48:49], v[4:5]
	v_fma_f64 v[46:47], v[46:47], v[6:7], -v[0:1]
	ds_load_b128 v[0:3], v131 offset:25920
	ds_load_b128 v[4:7], v131 offset:28080
	s_clause 0x1
	scratch_load_b128 v[50:53], off, off offset:120
	scratch_load_b128 v[54:57], off, off offset:136
	s_waitcnt vmcnt(1) lgkmcnt(1)
	v_mul_f64 v[48:49], v[52:53], v[2:3]
	s_delay_alu instid0(VALU_DEP_1) | instskip(SKIP_1) | instid1(VALU_DEP_1)
	v_fma_f64 v[48:49], v[50:51], v[0:1], v[48:49]
	v_mul_f64 v[0:1], v[52:53], v[0:1]
	v_fma_f64 v[50:51], v[50:51], v[2:3], -v[0:1]
	s_waitcnt vmcnt(0)
	v_mul_f64 v[0:1], v[56:57], v[14:15]
	s_delay_alu instid0(VALU_DEP_1) | instskip(SKIP_1) | instid1(VALU_DEP_1)
	v_fma_f64 v[52:53], v[54:55], v[12:13], v[0:1]
	v_mul_f64 v[0:1], v[56:57], v[12:13]
	v_fma_f64 v[54:55], v[54:55], v[14:15], -v[0:1]
	ds_load_b128 v[0:3], v131 offset:17280
	ds_load_b128 v[12:15], v131 offset:19440
	s_clause 0x1
	scratch_load_b128 v[58:61], off, off offset:152
	scratch_load_b128 v[62:65], off, off offset:168
	s_waitcnt vmcnt(1) lgkmcnt(1)
	v_mul_f64 v[56:57], v[60:61], v[2:3]
	s_delay_alu instid0(VALU_DEP_1) | instskip(SKIP_1) | instid1(VALU_DEP_1)
	v_fma_f64 v[56:57], v[58:59], v[0:1], v[56:57]
	v_mul_f64 v[0:1], v[60:61], v[0:1]
	v_fma_f64 v[58:59], v[58:59], v[2:3], -v[0:1]
	s_waitcnt vmcnt(0)
	v_mul_f64 v[0:1], v[64:65], v[6:7]
	s_delay_alu instid0(VALU_DEP_1)
	v_fma_f64 v[60:61], v[62:63], v[4:5], v[0:1]
	v_mul_f64 v[0:1], v[64:65], v[4:5]
	scratch_load_b128 v[2:5], off, off offset:200 ; 16-byte Folded Reload
	v_fma_f64 v[62:63], v[62:63], v[6:7], -v[0:1]
	s_waitcnt vmcnt(0)
	v_mul_f64 v[0:1], v[4:5], v[10:11]
	s_delay_alu instid0(VALU_DEP_1)
	v_fma_f64 v[64:65], v[2:3], v[8:9], v[0:1]
	v_mul_f64 v[0:1], v[4:5], v[8:9]
	scratch_load_b128 v[6:9], off, off offset:232 ; 16-byte Folded Reload
	v_fma_f64 v[66:67], v[2:3], v[10:11], -v[0:1]
	scratch_load_b128 v[2:5], off, off offset:216 ; 16-byte Folded Reload
	s_waitcnt vmcnt(0) lgkmcnt(0)
	v_mul_f64 v[0:1], v[4:5], v[14:15]
	s_delay_alu instid0(VALU_DEP_1) | instskip(SKIP_1) | instid1(VALU_DEP_1)
	v_fma_f64 v[68:69], v[2:3], v[12:13], v[0:1]
	v_mul_f64 v[0:1], v[4:5], v[12:13]
	v_fma_f64 v[70:71], v[2:3], v[14:15], -v[0:1]
	ds_load_b128 v[0:3], v131 offset:30240
	s_waitcnt lgkmcnt(0)
	v_mul_f64 v[4:5], v[8:9], v[2:3]
	s_delay_alu instid0(VALU_DEP_1) | instskip(SKIP_2) | instid1(VALU_DEP_1)
	v_fma_f64 v[72:73], v[6:7], v[0:1], v[4:5]
	scratch_load_b64 v[4:5], off, off       ; 8-byte Folded Reload
	v_mul_f64 v[0:1], v[8:9], v[0:1]
	v_fma_f64 v[74:75], v[6:7], v[2:3], -v[0:1]
	v_mov_b32_e32 v6, v119
	s_waitcnt vmcnt(0)
	v_mad_u64_u32 v[0:1], null, s6, v4, 0
	s_mul_i32 s6, s4, 0x2a30
	s_delay_alu instid0(VALU_DEP_1) | instskip(NEXT) | instid1(VALU_DEP_1)
	v_mad_u64_u32 v[2:3], null, s7, v4, v[1:2]
	v_mov_b32_e32 v1, v2
	v_mad_u64_u32 v[2:3], null, s4, v6, 0
	s_mulk_i32 s4, 0xb410
	s_delay_alu instid0(VALU_DEP_2) | instskip(NEXT) | instid1(VALU_DEP_2)
	v_lshlrev_b64 v[0:1], 4, v[0:1]
	v_mad_u64_u32 v[4:5], null, s5, v6, v[3:4]
	s_mulk_i32 s5, 0xb410
	s_delay_alu instid0(SALU_CYCLE_1) | instskip(NEXT) | instid1(VALU_DEP_1)
	s_add_i32 s2, s2, s5
	v_mov_b32_e32 v3, v4
	s_delay_alu instid0(VALU_DEP_3) | instskip(SKIP_1) | instid1(VALU_DEP_3)
	v_add_co_u32 v4, vcc_lo, s0, v0
	v_add_co_ci_u32_e32 v5, vcc_lo, s1, v1, vcc_lo
	v_lshlrev_b64 v[0:1], 4, v[2:3]
	s_mov_b32 s0, 0xc0898b71
	s_mov_b32 s1, 0x3f402e85
	s_delay_alu instid0(SALU_CYCLE_1) | instskip(SKIP_1) | instid1(VALU_DEP_3)
	v_mul_f64 v[2:3], v[18:19], s[0:1]
	v_mul_f64 v[6:7], v[42:43], s[0:1]
	v_add_co_u32 v4, vcc_lo, v4, v0
	v_add_co_ci_u32_e32 v5, vcc_lo, v5, v1, vcc_lo
	v_mul_f64 v[0:1], v[16:17], s[0:1]
	v_mul_f64 v[10:11], v[50:51], s[0:1]
	;; [unrolled: 1-line block ×6, first 2 shown]
	global_store_b128 v[4:5], v[0:3], off
	v_mul_f64 v[0:1], v[20:21], s[0:1]
	v_mul_f64 v[2:3], v[22:23], s[0:1]
	v_add_co_u32 v4, vcc_lo, v4, s6
	v_add_co_ci_u32_e32 v5, vcc_lo, s3, v5, vcc_lo
	v_mul_f64 v[20:21], v[60:61], s[0:1]
	v_mul_f64 v[22:23], v[62:63], s[0:1]
	global_store_b128 v[4:5], v[0:3], off
	v_mul_f64 v[0:1], v[24:25], s[0:1]
	v_mul_f64 v[2:3], v[26:27], s[0:1]
	v_add_co_u32 v4, vcc_lo, v4, s6
	v_add_co_ci_u32_e32 v5, vcc_lo, s3, v5, vcc_lo
	v_mul_f64 v[24:25], v[64:65], s[0:1]
	v_mul_f64 v[26:27], v[66:67], s[0:1]
	global_store_b128 v[4:5], v[0:3], off
	v_mul_f64 v[0:1], v[28:29], s[0:1]
	v_mul_f64 v[2:3], v[30:31], s[0:1]
	v_add_co_u32 v4, vcc_lo, v4, s4
	v_add_co_ci_u32_e32 v5, vcc_lo, s2, v5, vcc_lo
	v_mul_f64 v[28:29], v[68:69], s[0:1]
	s_delay_alu instid0(VALU_DEP_3) | instskip(NEXT) | instid1(VALU_DEP_3)
	v_add_co_u32 v8, vcc_lo, v4, s6
	v_add_co_ci_u32_e32 v9, vcc_lo, s3, v5, vcc_lo
	v_mul_f64 v[30:31], v[70:71], s[0:1]
	global_store_b128 v[4:5], v[0:3], off
	v_mul_f64 v[0:1], v[32:33], s[0:1]
	v_mul_f64 v[2:3], v[34:35], s[0:1]
	;; [unrolled: 1-line block ×5, first 2 shown]
	global_store_b128 v[8:9], v[0:3], off
	v_mul_f64 v[0:1], v[36:37], s[0:1]
	v_mul_f64 v[2:3], v[38:39], s[0:1]
	v_add_co_u32 v8, vcc_lo, v8, s6
	v_add_co_ci_u32_e32 v9, vcc_lo, s3, v9, vcc_lo
	s_delay_alu instid0(VALU_DEP_2) | instskip(NEXT) | instid1(VALU_DEP_2)
	v_add_co_u32 v36, vcc_lo, v8, s4
	v_add_co_ci_u32_e32 v37, vcc_lo, s2, v9, vcc_lo
	s_delay_alu instid0(VALU_DEP_2) | instskip(NEXT) | instid1(VALU_DEP_2)
	;; [unrolled: 3-line block ×4, first 2 shown]
	v_add_co_u32 v42, vcc_lo, v40, s4
	v_add_co_ci_u32_e32 v43, vcc_lo, s2, v41, vcc_lo
	global_store_b128 v[8:9], v[0:3], off
	v_mul_f64 v[0:1], v[44:45], s[0:1]
	v_mul_f64 v[2:3], v[46:47], s[0:1]
	;; [unrolled: 1-line block ×3, first 2 shown]
	global_store_b128 v[36:37], v[4:7], off
	v_add_co_u32 v4, vcc_lo, v42, s6
	v_add_co_ci_u32_e32 v5, vcc_lo, s3, v43, vcc_lo
	s_delay_alu instid0(VALU_DEP_2) | instskip(NEXT) | instid1(VALU_DEP_2)
	v_add_co_u32 v6, vcc_lo, v4, s6
	v_add_co_ci_u32_e32 v7, vcc_lo, s3, v5, vcc_lo
	s_delay_alu instid0(VALU_DEP_2) | instskip(NEXT) | instid1(VALU_DEP_2)
	v_add_co_u32 v36, vcc_lo, v6, s4
	v_add_co_ci_u32_e32 v37, vcc_lo, s2, v7, vcc_lo
	global_store_b128 v[38:39], v[0:3], off
	v_add_co_u32 v0, vcc_lo, v36, s6
	v_add_co_ci_u32_e32 v1, vcc_lo, s3, v37, vcc_lo
	s_delay_alu instid0(VALU_DEP_2) | instskip(NEXT) | instid1(VALU_DEP_2)
	v_add_co_u32 v2, vcc_lo, v0, s6
	v_add_co_ci_u32_e32 v3, vcc_lo, s3, v1, vcc_lo
	global_store_b128 v[40:41], v[8:11], off
	global_store_b128 v[42:43], v[12:15], off
	;; [unrolled: 1-line block ×7, first 2 shown]
.LBB0_2:
	s_nop 0
	s_sendmsg sendmsg(MSG_DEALLOC_VGPRS)
	s_endpgm
	.section	.rodata,"a",@progbits
	.p2align	6, 0x0
	.amdhsa_kernel bluestein_single_back_len2025_dim1_dp_op_CI_CI
		.amdhsa_group_segment_fixed_size 32400
		.amdhsa_private_segment_fixed_size 544
		.amdhsa_kernarg_size 104
		.amdhsa_user_sgpr_count 15
		.amdhsa_user_sgpr_dispatch_ptr 0
		.amdhsa_user_sgpr_queue_ptr 0
		.amdhsa_user_sgpr_kernarg_segment_ptr 1
		.amdhsa_user_sgpr_dispatch_id 0
		.amdhsa_user_sgpr_private_segment_size 0
		.amdhsa_wavefront_size32 1
		.amdhsa_uses_dynamic_stack 0
		.amdhsa_enable_private_segment 1
		.amdhsa_system_sgpr_workgroup_id_x 1
		.amdhsa_system_sgpr_workgroup_id_y 0
		.amdhsa_system_sgpr_workgroup_id_z 0
		.amdhsa_system_sgpr_workgroup_info 0
		.amdhsa_system_vgpr_workitem_id 0
		.amdhsa_next_free_vgpr 256
		.amdhsa_next_free_sgpr 23
		.amdhsa_reserve_vcc 1
		.amdhsa_float_round_mode_32 0
		.amdhsa_float_round_mode_16_64 0
		.amdhsa_float_denorm_mode_32 3
		.amdhsa_float_denorm_mode_16_64 3
		.amdhsa_dx10_clamp 1
		.amdhsa_ieee_mode 1
		.amdhsa_fp16_overflow 0
		.amdhsa_workgroup_processor_mode 1
		.amdhsa_memory_ordered 1
		.amdhsa_forward_progress 0
		.amdhsa_shared_vgpr_count 0
		.amdhsa_exception_fp_ieee_invalid_op 0
		.amdhsa_exception_fp_denorm_src 0
		.amdhsa_exception_fp_ieee_div_zero 0
		.amdhsa_exception_fp_ieee_overflow 0
		.amdhsa_exception_fp_ieee_underflow 0
		.amdhsa_exception_fp_ieee_inexact 0
		.amdhsa_exception_int_div_zero 0
	.end_amdhsa_kernel
	.text
.Lfunc_end0:
	.size	bluestein_single_back_len2025_dim1_dp_op_CI_CI, .Lfunc_end0-bluestein_single_back_len2025_dim1_dp_op_CI_CI
                                        ; -- End function
	.section	.AMDGPU.csdata,"",@progbits
; Kernel info:
; codeLenInByte = 25656
; NumSgprs: 25
; NumVgprs: 256
; ScratchSize: 544
; MemoryBound: 0
; FloatMode: 240
; IeeeMode: 1
; LDSByteSize: 32400 bytes/workgroup (compile time only)
; SGPRBlocks: 3
; VGPRBlocks: 31
; NumSGPRsForWavesPerEU: 25
; NumVGPRsForWavesPerEU: 256
; Occupancy: 5
; WaveLimiterHint : 1
; COMPUTE_PGM_RSRC2:SCRATCH_EN: 1
; COMPUTE_PGM_RSRC2:USER_SGPR: 15
; COMPUTE_PGM_RSRC2:TRAP_HANDLER: 0
; COMPUTE_PGM_RSRC2:TGID_X_EN: 1
; COMPUTE_PGM_RSRC2:TGID_Y_EN: 0
; COMPUTE_PGM_RSRC2:TGID_Z_EN: 0
; COMPUTE_PGM_RSRC2:TIDIG_COMP_CNT: 0
	.text
	.p2alignl 7, 3214868480
	.fill 96, 4, 3214868480
	.type	__hip_cuid_25e57de7f24c8db9,@object ; @__hip_cuid_25e57de7f24c8db9
	.section	.bss,"aw",@nobits
	.globl	__hip_cuid_25e57de7f24c8db9
__hip_cuid_25e57de7f24c8db9:
	.byte	0                               ; 0x0
	.size	__hip_cuid_25e57de7f24c8db9, 1

	.ident	"AMD clang version 19.0.0git (https://github.com/RadeonOpenCompute/llvm-project roc-6.4.0 25133 c7fe45cf4b819c5991fe208aaa96edf142730f1d)"
	.section	".note.GNU-stack","",@progbits
	.addrsig
	.addrsig_sym __hip_cuid_25e57de7f24c8db9
	.amdgpu_metadata
---
amdhsa.kernels:
  - .args:
      - .actual_access:  read_only
        .address_space:  global
        .offset:         0
        .size:           8
        .value_kind:     global_buffer
      - .actual_access:  read_only
        .address_space:  global
        .offset:         8
        .size:           8
        .value_kind:     global_buffer
      - .actual_access:  read_only
        .address_space:  global
        .offset:         16
        .size:           8
        .value_kind:     global_buffer
      - .actual_access:  read_only
        .address_space:  global
        .offset:         24
        .size:           8
        .value_kind:     global_buffer
      - .actual_access:  read_only
        .address_space:  global
        .offset:         32
        .size:           8
        .value_kind:     global_buffer
      - .offset:         40
        .size:           8
        .value_kind:     by_value
      - .address_space:  global
        .offset:         48
        .size:           8
        .value_kind:     global_buffer
      - .address_space:  global
        .offset:         56
        .size:           8
        .value_kind:     global_buffer
      - .address_space:  global
        .offset:         64
        .size:           8
        .value_kind:     global_buffer
      - .address_space:  global
        .offset:         72
        .size:           8
        .value_kind:     global_buffer
      - .offset:         80
        .size:           4
        .value_kind:     by_value
      - .address_space:  global
        .offset:         88
        .size:           8
        .value_kind:     global_buffer
      - .address_space:  global
        .offset:         96
        .size:           8
        .value_kind:     global_buffer
    .group_segment_fixed_size: 32400
    .kernarg_segment_align: 8
    .kernarg_segment_size: 104
    .language:       OpenCL C
    .language_version:
      - 2
      - 0
    .max_flat_workgroup_size: 135
    .name:           bluestein_single_back_len2025_dim1_dp_op_CI_CI
    .private_segment_fixed_size: 544
    .sgpr_count:     25
    .sgpr_spill_count: 0
    .symbol:         bluestein_single_back_len2025_dim1_dp_op_CI_CI.kd
    .uniform_work_group_size: 1
    .uses_dynamic_stack: false
    .vgpr_count:     256
    .vgpr_spill_count: 135
    .wavefront_size: 32
    .workgroup_processor_mode: 1
amdhsa.target:   amdgcn-amd-amdhsa--gfx1100
amdhsa.version:
  - 1
  - 2
...

	.end_amdgpu_metadata
